;; amdgpu-corpus repo=ROCm/rocFFT kind=compiled arch=gfx1201 opt=O3
	.text
	.amdgcn_target "amdgcn-amd-amdhsa--gfx1201"
	.amdhsa_code_object_version 6
	.protected	bluestein_single_back_len1617_dim1_dp_op_CI_CI ; -- Begin function bluestein_single_back_len1617_dim1_dp_op_CI_CI
	.globl	bluestein_single_back_len1617_dim1_dp_op_CI_CI
	.p2align	8
	.type	bluestein_single_back_len1617_dim1_dp_op_CI_CI,@function
bluestein_single_back_len1617_dim1_dp_op_CI_CI: ; @bluestein_single_back_len1617_dim1_dp_op_CI_CI
; %bb.0:
	s_load_b128 s[8:11], s[0:1], 0x28
	v_mul_u32_u24_e32 v1, 0x11c, v0
	s_mov_b32 s2, exec_lo
	v_mov_b32_e32 v5, 0
	s_delay_alu instid0(VALU_DEP_2) | instskip(NEXT) | instid1(VALU_DEP_1)
	v_lshrrev_b32_e32 v1, 16, v1
	v_add_nc_u32_e32 v4, ttmp9, v1
	s_wait_kmcnt 0x0
	s_delay_alu instid0(VALU_DEP_1)
	v_cmpx_gt_u64_e64 s[8:9], v[4:5]
	s_cbranch_execz .LBB0_23
; %bb.1:
	s_clause 0x1
	s_load_b128 s[4:7], s[0:1], 0x18
	s_load_b64 s[16:17], s[0:1], 0x0
	v_mul_lo_u16 v1, 0xe7, v1
	s_movk_i32 s2, 0xfcb1
	s_mov_b32 s3, -1
	v_mov_b32_e32 v5, v4
	s_delay_alu instid0(VALU_DEP_2) | instskip(SKIP_2) | instid1(VALU_DEP_1)
	v_sub_nc_u16 v50, v0, v1
	scratch_store_b64 off, v[5:6], off offset:8 ; 8-byte Folded Spill
	v_and_b32_e32 v184, 0xffff, v50
	v_lshlrev_b32_e32 v255, 4, v184
	s_wait_kmcnt 0x0
	s_load_b128 s[12:15], s[4:5], 0x0
	s_clause 0x3
	global_load_b128 v[51:54], v255, s[16:17] offset:8624
	global_load_b128 v[55:58], v255, s[16:17] offset:17248
	global_load_b128 v[59:62], v255, s[16:17]
	global_load_b128 v[63:66], v255, s[16:17] offset:3696
	s_wait_kmcnt 0x0
	v_mad_co_u64_u32 v[0:1], null, s14, v4, 0
	v_mad_co_u64_u32 v[2:3], null, s12, v184, 0
	s_mul_u64 s[4:5], s[12:13], 0x21b
	s_mul_u64 s[2:3], s[12:13], s[2:3]
	s_delay_alu instid0(SALU_CYCLE_1) | instskip(NEXT) | instid1(VALU_DEP_1)
	s_lshl_b64 s[2:3], s[2:3], 4
	v_mad_co_u64_u32 v[4:5], null, s15, v4, v[1:2]
	s_delay_alu instid0(VALU_DEP_1) | instskip(SKIP_1) | instid1(VALU_DEP_1)
	v_mad_co_u64_u32 v[5:6], null, s13, v184, v[3:4]
	v_mov_b32_e32 v1, v4
	v_lshlrev_b64_e32 v[0:1], 4, v[0:1]
	s_delay_alu instid0(VALU_DEP_3) | instskip(NEXT) | instid1(VALU_DEP_2)
	v_mov_b32_e32 v3, v5
	v_add_co_u32 v0, vcc_lo, s10, v0
	s_delay_alu instid0(VALU_DEP_2) | instskip(NEXT) | instid1(VALU_DEP_4)
	v_lshlrev_b64_e32 v[2:3], 4, v[2:3]
	v_add_co_ci_u32_e32 v1, vcc_lo, s11, v1, vcc_lo
	s_lshl_b64 s[10:11], s[4:5], 4
	s_delay_alu instid0(VALU_DEP_2) | instskip(SKIP_1) | instid1(VALU_DEP_2)
	v_add_co_u32 v0, vcc_lo, v0, v2
	s_wait_alu 0xfffd
	v_add_co_ci_u32_e32 v1, vcc_lo, v1, v3, vcc_lo
	s_wait_alu 0xfffe
	s_delay_alu instid0(VALU_DEP_2) | instskip(SKIP_1) | instid1(VALU_DEP_2)
	v_add_co_u32 v6, vcc_lo, v0, s10
	s_wait_alu 0xfffd
	v_add_co_ci_u32_e32 v7, vcc_lo, s11, v1, vcc_lo
	s_delay_alu instid0(VALU_DEP_2) | instskip(SKIP_1) | instid1(VALU_DEP_2)
	v_add_co_u32 v10, vcc_lo, v6, s10
	s_wait_alu 0xfffd
	v_add_co_ci_u32_e32 v11, vcc_lo, s11, v7, vcc_lo
	s_clause 0x1
	global_load_b128 v[2:5], v[0:1], off
	global_load_b128 v[6:9], v[6:7], off
	v_add_co_u32 v14, vcc_lo, v10, s2
	s_wait_alu 0xfffd
	v_add_co_ci_u32_e32 v15, vcc_lo, s3, v11, vcc_lo
	s_delay_alu instid0(VALU_DEP_2) | instskip(SKIP_1) | instid1(VALU_DEP_2)
	v_add_co_u32 v18, vcc_lo, v14, s10
	s_wait_alu 0xfffd
	v_add_co_ci_u32_e32 v19, vcc_lo, s11, v15, vcc_lo
	s_clause 0x1
	global_load_b128 v[10:13], v[10:11], off
	global_load_b128 v[14:17], v[14:15], off
	v_add_co_u32 v0, vcc_lo, v18, s10
	s_wait_alu 0xfffd
	v_add_co_ci_u32_e32 v1, vcc_lo, s11, v19, vcc_lo
	global_load_b128 v[67:70], v255, s[16:17] offset:12320
	global_load_b128 v[18:21], v[18:19], off
	global_load_b128 v[71:74], v255, s[16:17] offset:20944
	global_load_b128 v[22:25], v[0:1], off
	v_cmp_gt_u16_e32 vcc_lo, 0x4d, v50
	s_wait_loadcnt 0xa
	scratch_store_b128 off, v[55:58], off offset:32 ; 16-byte Folded Spill
	s_wait_loadcnt 0x9
	scratch_store_b128 off, v[59:62], off offset:48 ; 16-byte Folded Spill
	s_wait_loadcnt 0x8
	s_clause 0x1
	scratch_store_b128 off, v[63:66], off offset:64
	scratch_store_b128 off, v[51:54], off offset:16
	s_wait_loadcnt 0x7
	v_mul_f64_e32 v[26:27], v[4:5], v[61:62]
	v_mul_f64_e32 v[28:29], v[2:3], v[61:62]
	s_wait_loadcnt 0x6
	v_mul_f64_e32 v[30:31], v[8:9], v[53:54]
	v_mul_f64_e32 v[32:33], v[6:7], v[53:54]
	s_wait_loadcnt 0x5
	v_mul_f64_e32 v[34:35], v[12:13], v[57:58]
	s_wait_loadcnt 0x4
	v_mul_f64_e32 v[36:37], v[16:17], v[65:66]
	v_mul_f64_e32 v[38:39], v[14:15], v[65:66]
	;; [unrolled: 1-line block ×3, first 2 shown]
	s_wait_loadcnt 0x2
	v_mul_f64_e32 v[42:43], v[20:21], v[69:70]
	v_mul_f64_e32 v[44:45], v[18:19], v[69:70]
	s_wait_loadcnt 0x0
	v_mul_f64_e32 v[46:47], v[24:25], v[73:74]
	v_mul_f64_e32 v[48:49], v[22:23], v[73:74]
	s_clause 0x1
	scratch_store_b128 off, v[67:70], off offset:80
	scratch_store_b128 off, v[71:74], off offset:96
	s_load_b64 s[8:9], s[0:1], 0x38
	s_load_b128 s[4:7], s[6:7], 0x0
	v_fma_f64 v[2:3], v[2:3], v[59:60], v[26:27]
	v_fma_f64 v[4:5], v[4:5], v[59:60], -v[28:29]
	v_fma_f64 v[6:7], v[6:7], v[51:52], v[30:31]
	v_fma_f64 v[8:9], v[8:9], v[51:52], -v[32:33]
	v_add_co_u32 v26, s12, s16, v255
	s_wait_alu 0xf1ff
	v_add_co_ci_u32_e64 v27, null, s17, 0, s12
	v_fma_f64 v[10:11], v[10:11], v[55:56], v[34:35]
	v_fma_f64 v[14:15], v[14:15], v[63:64], v[36:37]
	v_fma_f64 v[16:17], v[16:17], v[63:64], -v[38:39]
	v_fma_f64 v[12:13], v[12:13], v[55:56], -v[40:41]
	v_fma_f64 v[18:19], v[18:19], v[67:68], v[42:43]
	v_fma_f64 v[20:21], v[20:21], v[67:68], -v[44:45]
	v_fma_f64 v[22:23], v[22:23], v[71:72], v[46:47]
	v_fma_f64 v[24:25], v[24:25], v[71:72], -v[48:49]
	scratch_store_b64 off, v[26:27], off    ; 8-byte Folded Spill
	ds_store_b128 v255, v[2:5]
	ds_store_b128 v255, v[14:17] offset:3696
	ds_store_b128 v255, v[6:9] offset:8624
	;; [unrolled: 1-line block ×5, first 2 shown]
	s_and_saveexec_b32 s12, vcc_lo
	s_cbranch_execz .LBB0_3
; %bb.2:
	scratch_load_b64 v[16:17], off, off     ; 8-byte Folded Reload
	v_add_co_u32 v0, s2, v0, s2
	s_wait_alu 0xf1ff
	v_add_co_ci_u32_e64 v1, s2, s3, v1, s2
	s_delay_alu instid0(VALU_DEP_2) | instskip(SKIP_1) | instid1(VALU_DEP_2)
	v_add_co_u32 v8, s2, v0, s10
	s_wait_alu 0xf1ff
	v_add_co_ci_u32_e64 v9, s2, s11, v1, s2
	global_load_b128 v[0:3], v[0:1], off
	v_add_co_u32 v20, s2, v8, s10
	s_wait_alu 0xf1ff
	v_add_co_ci_u32_e64 v21, s2, s11, v9, s2
	s_wait_loadcnt 0x1
	global_load_b128 v[4:7], v[16:17], off offset:7392
	global_load_b128 v[8:11], v[8:9], off
	s_clause 0x1
	global_load_b128 v[12:15], v[16:17], off offset:16016
	global_load_b128 v[16:19], v[16:17], off offset:24640
	global_load_b128 v[20:23], v[20:21], off
	s_wait_loadcnt 0x4
	v_mul_f64_e32 v[24:25], v[2:3], v[6:7]
	v_mul_f64_e32 v[6:7], v[0:1], v[6:7]
	s_wait_loadcnt 0x2
	v_mul_f64_e32 v[26:27], v[10:11], v[14:15]
	v_mul_f64_e32 v[14:15], v[8:9], v[14:15]
	;; [unrolled: 3-line block ×3, first 2 shown]
	v_fma_f64 v[0:1], v[0:1], v[4:5], v[24:25]
	v_fma_f64 v[2:3], v[2:3], v[4:5], -v[6:7]
	v_fma_f64 v[4:5], v[8:9], v[12:13], v[26:27]
	v_fma_f64 v[6:7], v[10:11], v[12:13], -v[14:15]
	;; [unrolled: 2-line block ×3, first 2 shown]
	ds_store_b128 v255, v[0:3] offset:7392
	ds_store_b128 v255, v[4:7] offset:16016
	;; [unrolled: 1-line block ×3, first 2 shown]
.LBB0_3:
	s_wait_alu 0xfffe
	s_or_b32 exec_lo, exec_lo, s12
	global_wb scope:SCOPE_SE
	s_wait_storecnt_dscnt 0x0
	s_wait_kmcnt 0x0
	s_barrier_signal -1
	s_barrier_wait -1
	global_inv scope:SCOPE_SE
	ds_load_b128 v[48:51], v255
	ds_load_b128 v[44:47], v255 offset:3696
	ds_load_b128 v[56:59], v255 offset:8624
	;; [unrolled: 1-line block ×5, first 2 shown]
	s_load_b64 s[2:3], s[0:1], 0x8
                                        ; implicit-def: $vgpr24_vgpr25
                                        ; implicit-def: $vgpr28_vgpr29
                                        ; implicit-def: $vgpr32_vgpr33
	s_and_saveexec_b32 s0, vcc_lo
	s_cbranch_execz .LBB0_5
; %bb.4:
	ds_load_b128 v[24:27], v255 offset:7392
	ds_load_b128 v[28:31], v255 offset:16016
	;; [unrolled: 1-line block ×3, first 2 shown]
.LBB0_5:
	s_wait_alu 0xfffe
	s_or_b32 exec_lo, exec_lo, s0
	s_wait_dscnt 0x1
	v_add_f64_e32 v[0:1], v[56:57], v[40:41]
	v_add_f64_e32 v[2:3], v[58:59], v[42:43]
	s_wait_dscnt 0x0
	v_add_f64_e32 v[4:5], v[52:53], v[36:37]
	v_add_f64_e32 v[6:7], v[54:55], v[38:39]
	;; [unrolled: 1-line block ×5, first 2 shown]
	v_add_f64_e64 v[14:15], v[58:59], -v[42:43]
	v_add_f64_e32 v[16:17], v[50:51], v[58:59]
	v_add_f64_e32 v[18:19], v[44:45], v[52:53]
	v_add_f64_e32 v[20:21], v[46:47], v[54:55]
	v_add_f64_e64 v[54:55], v[54:55], -v[38:39]
	v_add_f64_e64 v[52:53], v[52:53], -v[36:37]
	;; [unrolled: 1-line block ×3, first 2 shown]
	s_mov_b32 s0, 0xe8584caa
	s_mov_b32 s1, 0x3febb67a
	;; [unrolled: 1-line block ×3, first 2 shown]
	s_wait_alu 0xfffe
	s_mov_b32 s10, s0
	global_wb scope:SCOPE_SE
	s_wait_kmcnt 0x0
	s_barrier_signal -1
	s_barrier_wait -1
	global_inv scope:SCOPE_SE
	v_fma_f64 v[22:23], v[0:1], -0.5, v[48:49]
	v_add_f64_e64 v[48:49], v[56:57], -v[40:41]
	v_fma_f64 v[50:51], v[2:3], -0.5, v[50:51]
	v_fma_f64 v[44:45], v[4:5], -0.5, v[44:45]
	;; [unrolled: 1-line block ×3, first 2 shown]
	v_add_f64_e64 v[56:57], v[30:31], -v[34:35]
	v_fma_f64 v[58:59], v[8:9], -0.5, v[24:25]
	v_fma_f64 v[62:63], v[10:11], -0.5, v[26:27]
	v_add_f64_e32 v[0:1], v[12:13], v[40:41]
	v_add_f64_e32 v[2:3], v[16:17], v[42:43]
	;; [unrolled: 1-line block ×4, first 2 shown]
	v_mul_lo_u16 v36, v184, 3
	v_add_nc_u32_e32 v37, 0xe7, v184
	v_add_co_u32 v38, null, 0x1ce, v184
	s_delay_alu instid0(VALU_DEP_3) | instskip(NEXT) | instid1(VALU_DEP_3)
	v_and_b32_e32 v36, 0xffff, v36
	v_mul_u32_u24_e32 v37, 3, v37
	s_delay_alu instid0(VALU_DEP_2) | instskip(NEXT) | instid1(VALU_DEP_2)
	v_lshlrev_b32_e32 v39, 4, v36
	v_lshlrev_b32_e32 v36, 4, v37
	v_mul_u32_u24_e32 v37, 3, v38
	scratch_store_b32 off, v37, off offset:116 ; 4-byte Folded Spill
	v_fma_f64 v[8:9], v[14:15], s[0:1], v[22:23]
	s_wait_alu 0xfffe
	v_fma_f64 v[12:13], v[14:15], s[10:11], v[22:23]
	v_fma_f64 v[14:15], v[48:49], s[0:1], v[50:51]
	;; [unrolled: 1-line block ×11, first 2 shown]
	ds_store_b128 v39, v[0:3]
	ds_store_b128 v39, v[8:11] offset:16
	scratch_store_b32 off, v39, off offset:120 ; 4-byte Folded Spill
	ds_store_b128 v39, v[12:15] offset:32
	ds_store_b128 v36, v[4:7]
	ds_store_b128 v36, v[16:19] offset:16
	scratch_store_b32 off, v36, off offset:112 ; 4-byte Folded Spill
	ds_store_b128 v36, v[20:23] offset:32
	s_and_saveexec_b32 s0, vcc_lo
	s_cbranch_execz .LBB0_7
; %bb.6:
	v_add_f64_e32 v[0:1], v[26:27], v[30:31]
	v_add_f64_e32 v[4:5], v[24:25], v[28:29]
	s_delay_alu instid0(VALU_DEP_2) | instskip(NEXT) | instid1(VALU_DEP_2)
	v_add_f64_e32 v[2:3], v[0:1], v[34:35]
	v_add_f64_e32 v[0:1], v[4:5], v[32:33]
	scratch_load_b32 v4, off, off offset:116 ; 4-byte Folded Reload
	s_wait_loadcnt 0x0
	v_lshlrev_b32_e32 v4, 4, v4
	ds_store_b128 v4, v[0:3]
	ds_store_b128 v4, v[104:107] offset:16
	ds_store_b128 v4, v[108:111] offset:32
.LBB0_7:
	s_wait_alu 0xfffe
	s_or_b32 exec_lo, exec_lo, s0
	v_and_b32_e32 v72, 0xff, v184
	global_wb scope:SCOPE_SE
	s_wait_storecnt_dscnt 0x0
	s_barrier_signal -1
	s_barrier_wait -1
	global_inv scope:SCOPE_SE
	v_mul_lo_u16 v0, 0xab, v72
	s_mov_b32 s10, 0x37e14327
	s_mov_b32 s12, 0xe976ee23
	s_mov_b32 s11, 0x3fe948f6
	s_mov_b32 s13, 0xbfe11646
	v_lshrrev_b16 v73, 9, v0
	s_mov_b32 s0, 0x429ad128
	s_mov_b32 s1, 0x3febfeb5
	;; [unrolled: 1-line block ×4, first 2 shown]
	v_mul_lo_u16 v0, v73, 3
	s_mov_b32 s18, 0xaaaaaaaa
	s_mov_b32 s24, 0xb247c609
	;; [unrolled: 1-line block ×4, first 2 shown]
	v_sub_nc_u16 v0, v184, v0
	s_mov_b32 s20, 0x5476071b
	s_mov_b32 s21, 0x3fe77f67
	;; [unrolled: 1-line block ×4, first 2 shown]
	v_and_b32_e32 v74, 0xff, v0
	s_mov_b32 s22, s20
	s_mov_b32 s26, s24
	;; [unrolled: 1-line block ×4, first 2 shown]
	v_mul_u32_u24_e32 v0, 6, v74
                                        ; implicit-def: $vgpr100_vgpr101
	s_delay_alu instid0(VALU_DEP_1)
	v_lshlrev_b32_e32 v0, 4, v0
	s_clause 0x5
	global_load_b128 v[28:31], v0, s[2:3]
	global_load_b128 v[24:27], v0, s[2:3] offset:16
	global_load_b128 v[32:35], v0, s[2:3] offset:80
	;; [unrolled: 1-line block ×5, first 2 shown]
	ds_load_b128 v[0:3], v255 offset:3696
	ds_load_b128 v[4:7], v255 offset:7392
	;; [unrolled: 1-line block ×6, first 2 shown]
	s_wait_loadcnt_dscnt 0x505
	v_mul_f64_e32 v[50:51], v[0:1], v[30:31]
	s_wait_loadcnt_dscnt 0x404
	v_mul_f64_e32 v[54:55], v[4:5], v[26:27]
	s_wait_loadcnt_dscnt 0x303
	v_mul_f64_e32 v[58:59], v[8:9], v[34:35]
	s_wait_loadcnt_dscnt 0x202
	v_mul_f64_e32 v[62:63], v[12:13], v[46:47]
	v_mul_f64_e32 v[48:49], v[2:3], v[30:31]
	v_mul_f64_e32 v[52:53], v[6:7], v[26:27]
	;; [unrolled: 1-line block ×4, first 2 shown]
	s_wait_loadcnt_dscnt 0x101
	v_mul_f64_e32 v[64:65], v[18:19], v[42:43]
	v_mul_f64_e32 v[66:67], v[16:17], v[42:43]
	s_wait_loadcnt_dscnt 0x0
	v_mul_f64_e32 v[68:69], v[22:23], v[38:39]
	v_mul_f64_e32 v[70:71], v[20:21], v[38:39]
	v_fma_f64 v[2:3], v[2:3], v[28:29], v[50:51]
	v_fma_f64 v[6:7], v[6:7], v[24:25], v[54:55]
	;; [unrolled: 1-line block ×4, first 2 shown]
	v_fma_f64 v[0:1], v[0:1], v[28:29], -v[48:49]
	v_fma_f64 v[4:5], v[4:5], v[24:25], -v[52:53]
	;; [unrolled: 1-line block ×5, first 2 shown]
	v_fma_f64 v[18:19], v[18:19], v[40:41], v[66:67]
	v_fma_f64 v[20:21], v[20:21], v[36:37], -v[68:69]
	v_fma_f64 v[22:23], v[22:23], v[36:37], v[70:71]
	v_add_f64_e32 v[50:51], v[2:3], v[10:11]
	v_add_f64_e32 v[54:55], v[6:7], v[14:15]
	v_add_f64_e64 v[6:7], v[6:7], -v[14:15]
	v_add_f64_e64 v[10:11], v[2:3], -v[10:11]
	v_add_f64_e32 v[48:49], v[0:1], v[8:9]
	v_add_f64_e32 v[52:53], v[4:5], v[12:13]
	v_add_f64_e64 v[4:5], v[4:5], -v[12:13]
	v_add_f64_e64 v[8:9], v[0:1], -v[8:9]
	;; [unrolled: 4-line block ×3, first 2 shown]
	v_add_f64_e32 v[2:3], v[54:55], v[50:51]
	v_add_f64_e64 v[62:63], v[6:7], -v[10:11]
	v_add_f64_e32 v[0:1], v[52:53], v[48:49]
	v_add_f64_e64 v[60:61], v[4:5], -v[8:9]
	v_add_f64_e64 v[20:21], v[48:49], -v[12:13]
	;; [unrolled: 1-line block ×5, first 2 shown]
	v_add_f64_e32 v[4:5], v[16:17], v[4:5]
	v_add_f64_e32 v[6:7], v[18:19], v[6:7]
	v_add_f64_e64 v[16:17], v[8:9], -v[16:17]
	v_add_f64_e64 v[18:19], v[10:11], -v[18:19]
	;; [unrolled: 1-line block ×4, first 2 shown]
	v_add_f64_e32 v[66:67], v[14:15], v[2:3]
	v_add_f64_e64 v[14:15], v[14:15], -v[54:55]
	s_wait_alu 0xfffe
	v_mul_f64_e32 v[70:71], s[0:1], v[62:63]
	v_add_f64_e32 v[64:65], v[12:13], v[0:1]
	v_add_f64_e64 v[12:13], v[12:13], -v[52:53]
	ds_load_b128 v[0:3], v255
	v_mul_f64_e32 v[20:21], s[10:11], v[20:21]
	v_mul_f64_e32 v[22:23], s[10:11], v[22:23]
	v_mul_f64_e32 v[56:57], s[12:13], v[56:57]
	v_mul_f64_e32 v[58:59], s[12:13], v[58:59]
	v_mul_f64_e32 v[68:69], s[0:1], v[60:61]
	v_add_f64_e32 v[4:5], v[4:5], v[8:9]
	v_add_f64_e32 v[6:7], v[6:7], v[10:11]
	global_wb scope:SCOPE_SE
	s_wait_dscnt 0x0
	s_barrier_signal -1
	s_barrier_wait -1
	global_inv scope:SCOPE_SE
	v_add_f64_e32 v[2:3], v[2:3], v[66:67]
	v_mul_f64_e32 v[54:55], s[14:15], v[14:15]
	v_add_f64_e32 v[0:1], v[0:1], v[64:65]
	v_mul_f64_e32 v[52:53], s[14:15], v[12:13]
	v_fma_f64 v[8:9], v[12:13], s[14:15], v[20:21]
	v_fma_f64 v[10:11], v[14:15], s[14:15], v[22:23]
	;; [unrolled: 1-line block ×4, first 2 shown]
	v_fma_f64 v[58:59], v[62:63], s[0:1], -v[58:59]
	v_fma_f64 v[56:57], v[60:61], s[0:1], -v[56:57]
	;; [unrolled: 1-line block ×6, first 2 shown]
	v_fma_f64 v[62:63], v[66:67], s[18:19], v[2:3]
	v_fma_f64 v[50:51], v[50:51], s[20:21], -v[54:55]
	v_fma_f64 v[60:61], v[64:65], s[18:19], v[0:1]
	v_fma_f64 v[48:49], v[48:49], s[20:21], -v[52:53]
	v_fma_f64 v[52:53], v[4:5], s[28:29], v[12:13]
	v_fma_f64 v[54:55], v[6:7], s[28:29], v[14:15]
	;; [unrolled: 1-line block ×6, first 2 shown]
	v_mul_lo_u16 v4, 0x87, v72
	v_add_f64_e32 v[70:71], v[10:11], v[62:63]
	v_add_f64_e32 v[22:23], v[22:23], v[62:63]
	;; [unrolled: 1-line block ×6, first 2 shown]
	v_lshrrev_b16 v60, 8, v4
	s_delay_alu instid0(VALU_DEP_1) | instskip(NEXT) | instid1(VALU_DEP_1)
	v_sub_nc_u16 v4, v184, v60
	v_lshrrev_b16 v4, 1, v4
	s_delay_alu instid0(VALU_DEP_1) | instskip(SKIP_2) | instid1(VALU_DEP_3)
	v_and_b32_e32 v61, 0x7f, v4
	v_add_f64_e64 v[6:7], v[70:71], -v[52:53]
	v_add_f64_e32 v[50:51], v[52:53], v[70:71]
	v_add_nc_u16 v52, v61, v60
	v_add_f64_e64 v[10:11], v[22:23], -v[64:65]
	v_add_f64_e32 v[4:5], v[54:55], v[68:69]
	v_add_f64_e32 v[8:9], v[66:67], v[20:21]
	v_add_f64_e64 v[12:13], v[16:17], -v[58:59]
	v_add_f64_e32 v[14:15], v[56:57], v[18:19]
	v_add_f64_e32 v[16:17], v[58:59], v[16:17]
	v_add_f64_e64 v[18:19], v[18:19], -v[56:57]
	v_add_f64_e64 v[20:21], v[20:21], -v[66:67]
	v_add_f64_e32 v[22:23], v[64:65], v[22:23]
	v_lshrrev_b16 v52, 4, v52
	v_add_f64_e64 v[48:49], v[68:69], -v[54:55]
	s_delay_alu instid0(VALU_DEP_2) | instskip(SKIP_1) | instid1(VALU_DEP_2)
	v_and_b32_e32 v96, 15, v52
	v_and_b32_e32 v52, 0xffff, v73
	v_mul_lo_u16 v53, v96, 21
	s_delay_alu instid0(VALU_DEP_2) | instskip(NEXT) | instid1(VALU_DEP_2)
	v_mul_u32_u24_e32 v52, 21, v52
	v_sub_nc_u16 v53, v184, v53
	s_delay_alu instid0(VALU_DEP_2)
	v_add_lshl_u32 v158, v52, v74, 4
	ds_store_b128 v158, v[0:3]
	ds_store_b128 v158, v[4:7] offset:48
	ds_store_b128 v158, v[8:11] offset:96
	;; [unrolled: 1-line block ×6, first 2 shown]
	v_and_b32_e32 v97, 0xff, v53
	global_wb scope:SCOPE_SE
	s_wait_dscnt 0x0
	s_barrier_signal -1
	s_barrier_wait -1
	global_inv scope:SCOPE_SE
	v_mad_co_u64_u32 v[56:57], null, 0x60, v97, s[2:3]
	s_clause 0x5
	global_load_b128 v[52:55], v[56:57], off offset:288
	global_load_b128 v[48:51], v[56:57], off offset:304
	;; [unrolled: 1-line block ×6, first 2 shown]
	ds_load_b128 v[0:3], v255 offset:3696
	ds_load_b128 v[4:7], v255 offset:7392
	;; [unrolled: 1-line block ×6, first 2 shown]
	s_wait_loadcnt_dscnt 0x505
	v_mul_f64_e32 v[56:57], v[2:3], v[54:55]
	v_mul_f64_e32 v[58:59], v[0:1], v[54:55]
	s_wait_loadcnt_dscnt 0x404
	v_mul_f64_e32 v[76:77], v[6:7], v[50:51]
	v_mul_f64_e32 v[78:79], v[4:5], v[50:51]
	;; [unrolled: 3-line block ×6, first 2 shown]
	v_fma_f64 v[0:1], v[0:1], v[52:53], -v[56:57]
	v_fma_f64 v[2:3], v[2:3], v[52:53], v[58:59]
	v_fma_f64 v[4:5], v[4:5], v[48:49], -v[76:77]
	v_fma_f64 v[6:7], v[6:7], v[48:49], v[78:79]
	;; [unrolled: 2-line block ×6, first 2 shown]
	v_add_f64_e32 v[56:57], v[0:1], v[8:9]
	v_add_f64_e32 v[58:59], v[2:3], v[10:11]
	;; [unrolled: 1-line block ×4, first 2 shown]
	v_add_f64_e64 v[4:5], v[4:5], -v[12:13]
	v_add_f64_e64 v[6:7], v[6:7], -v[14:15]
	v_add_f64_e32 v[12:13], v[16:17], v[20:21]
	v_add_f64_e32 v[14:15], v[18:19], v[22:23]
	v_add_f64_e64 v[16:17], v[20:21], -v[16:17]
	v_add_f64_e64 v[18:19], v[22:23], -v[18:19]
	;; [unrolled: 1-line block ×4, first 2 shown]
	v_add_f64_e32 v[0:1], v[76:77], v[56:57]
	v_add_f64_e32 v[2:3], v[78:79], v[58:59]
	v_add_f64_e64 v[20:21], v[56:57], -v[12:13]
	v_add_f64_e64 v[22:23], v[58:59], -v[14:15]
	;; [unrolled: 1-line block ×6, first 2 shown]
	v_add_f64_e32 v[4:5], v[16:17], v[4:5]
	v_add_f64_e32 v[6:7], v[18:19], v[6:7]
	v_add_f64_e64 v[16:17], v[8:9], -v[16:17]
	v_add_f64_e64 v[18:19], v[10:11], -v[18:19]
	v_add_f64_e32 v[88:89], v[12:13], v[0:1]
	v_add_f64_e32 v[90:91], v[14:15], v[2:3]
	v_add_f64_e64 v[12:13], v[12:13], -v[76:77]
	v_add_f64_e64 v[14:15], v[14:15], -v[78:79]
	ds_load_b128 v[0:3], v255
	v_mul_f64_e32 v[20:21], s[10:11], v[20:21]
	v_mul_f64_e32 v[22:23], s[10:11], v[22:23]
	;; [unrolled: 1-line block ×6, first 2 shown]
	v_add_f64_e32 v[4:5], v[4:5], v[8:9]
	v_add_f64_e32 v[6:7], v[6:7], v[10:11]
	global_wb scope:SCOPE_SE
	s_wait_dscnt 0x0
	s_barrier_signal -1
	s_barrier_wait -1
	global_inv scope:SCOPE_SE
	v_add_f64_e32 v[120:121], v[0:1], v[88:89]
	v_add_f64_e32 v[122:123], v[2:3], v[90:91]
	v_add_f64_e64 v[0:1], v[76:77], -v[56:57]
	v_add_f64_e64 v[2:3], v[78:79], -v[58:59]
	v_mul_f64_e32 v[56:57], s[14:15], v[12:13]
	v_mul_f64_e32 v[58:59], s[14:15], v[14:15]
	v_fma_f64 v[8:9], v[12:13], s[14:15], v[20:21]
	v_fma_f64 v[10:11], v[14:15], s[14:15], v[22:23]
	;; [unrolled: 1-line block ×4, first 2 shown]
	v_fma_f64 v[76:77], v[84:85], s[0:1], -v[80:81]
	v_fma_f64 v[78:79], v[86:87], s[0:1], -v[82:83]
	;; [unrolled: 1-line block ×4, first 2 shown]
	v_cmp_gt_u16_e64 s0, 0x93, v184
	v_fma_f64 v[80:81], v[88:89], s[18:19], v[120:121]
	v_fma_f64 v[82:83], v[90:91], s[18:19], v[122:123]
	v_fma_f64 v[20:21], v[0:1], s[22:23], -v[20:21]
	v_fma_f64 v[22:23], v[2:3], s[22:23], -v[22:23]
	;; [unrolled: 1-line block ×4, first 2 shown]
	v_fma_f64 v[12:13], v[4:5], s[28:29], v[12:13]
	v_fma_f64 v[14:15], v[6:7], s[28:29], v[14:15]
	;; [unrolled: 1-line block ×6, first 2 shown]
	v_add_f64_e32 v[8:9], v[8:9], v[80:81]
	v_add_f64_e32 v[10:11], v[10:11], v[82:83]
	;; [unrolled: 1-line block ×7, first 2 shown]
	v_add_f64_e64 v[82:83], v[10:11], -v[12:13]
	v_add_f64_e32 v[88:89], v[6:7], v[16:17]
	v_add_f64_e64 v[90:91], v[18:19], -v[4:5]
	v_add_f64_e64 v[92:93], v[0:1], -v[58:59]
	v_add_f64_e32 v[94:95], v[56:57], v[2:3]
	v_add_f64_e32 v[124:125], v[58:59], v[0:1]
	v_add_f64_e64 v[126:127], v[2:3], -v[56:57]
	v_add_f64_e64 v[112:113], v[16:17], -v[6:7]
	v_add_f64_e32 v[114:115], v[4:5], v[18:19]
	v_add_f64_e64 v[116:117], v[8:9], -v[14:15]
	v_add_f64_e32 v[118:119], v[12:13], v[10:11]
	v_and_b32_e32 v0, 0xffff, v96
	s_delay_alu instid0(VALU_DEP_1) | instskip(NEXT) | instid1(VALU_DEP_1)
	v_mul_u32_u24_e32 v0, 0x93, v0
	v_add_lshl_u32 v183, v0, v97, 4
	ds_store_b128 v183, v[120:123]
	ds_store_b128 v183, v[80:83] offset:336
	ds_store_b128 v183, v[88:91] offset:672
	;; [unrolled: 1-line block ×6, first 2 shown]
	global_wb scope:SCOPE_SE
	s_wait_dscnt 0x0
	s_barrier_signal -1
	s_barrier_wait -1
	global_inv scope:SCOPE_SE
                                        ; implicit-def: $vgpr96_vgpr97
	s_and_saveexec_b32 s1, s0
	s_cbranch_execz .LBB0_9
; %bb.8:
	ds_load_b128 v[120:123], v255
	ds_load_b128 v[80:83], v255 offset:2352
	ds_load_b128 v[88:91], v255 offset:4704
	;; [unrolled: 1-line block ×10, first 2 shown]
.LBB0_9:
	s_wait_alu 0xfffe
	s_or_b32 exec_lo, exec_lo, s1
	v_add_nc_u32_e32 v0, 0xffffff6d, v184
	s_mov_b32 s24, 0xf8bb580b
	s_mov_b32 s25, 0xbfe14ced
	;; [unrolled: 1-line block ×4, first 2 shown]
	v_cndmask_b32_e64 v0, v0, v184, s0
	s_mov_b32 s21, 0xbfed1bb4
	s_mov_b32 s20, 0x8eee2c13
	;; [unrolled: 1-line block ×4, first 2 shown]
	v_mul_i32_i24_e32 v1, 0xa0, v0
	v_mul_hi_i32_i24_e32 v2, 0xa0, v0
	s_mov_b32 s12, 0x640f44db
	s_mov_b32 s13, 0xbfc2375f
	;; [unrolled: 1-line block ×3, first 2 shown]
	v_add_co_u32 v0, s1, s2, v1
	s_wait_alu 0xf1ff
	v_add_co_ci_u32_e64 v1, s1, s3, v2, s1
	s_mov_b32 s2, 0xd9c712b6
	s_mov_b32 s3, 0x3fda9628
	;; [unrolled: 1-line block ×3, first 2 shown]
	s_clause 0x1
	global_load_b128 v[56:59], v[0:1], off offset:2304
	global_load_b128 v[76:79], v[0:1], off offset:2320
	s_mov_b32 s14, 0x7f775887
	s_mov_b32 s15, 0xbfe4f49e
	s_mov_b32 s28, 0xfd768dbf
	s_mov_b32 s29, 0xbfd207e7
	s_mov_b32 s18, 0x9bcd5057
	s_mov_b32 s19, 0xbfeeb42a
	s_mov_b32 s31, 0x3fd207e7
	s_wait_alu 0xfffe
	s_mov_b32 s30, s28
	s_mov_b32 s35, 0x3fefac9e
	;; [unrolled: 1-line block ×5, first 2 shown]
	s_wait_loadcnt_dscnt 0x109
	v_mul_f64_e32 v[2:3], v[80:81], v[58:59]
	s_delay_alu instid0(VALU_DEP_1) | instskip(SKIP_1) | instid1(VALU_DEP_1)
	v_fma_f64 v[167:168], v[82:83], v[56:57], v[2:3]
	v_mul_f64_e32 v[2:3], v[82:83], v[58:59]
	v_fma_f64 v[169:170], v[80:81], v[56:57], -v[2:3]
	s_clause 0x1
	global_load_b128 v[80:83], v[0:1], off offset:2448
	global_load_b128 v[84:87], v[0:1], off offset:2432
	s_wait_loadcnt_dscnt 0x100
	v_mul_f64_e32 v[2:3], v[100:101], v[82:83]
	s_delay_alu instid0(VALU_DEP_1) | instskip(SKIP_1) | instid1(VALU_DEP_2)
	v_fma_f64 v[4:5], v[102:103], v[80:81], v[2:3]
	v_mul_f64_e32 v[2:3], v[102:103], v[82:83]
	v_add_f64_e64 v[12:13], v[167:168], -v[4:5]
	s_delay_alu instid0(VALU_DEP_2) | instskip(SKIP_2) | instid1(VALU_DEP_4)
	v_fma_f64 v[6:7], v[100:101], v[80:81], -v[2:3]
	v_mul_f64_e32 v[2:3], v[90:91], v[78:79]
	v_add_f64_e32 v[249:250], v[167:168], v[4:5]
	v_mul_f64_e32 v[243:244], s[24:25], v[12:13]
	s_delay_alu instid0(VALU_DEP_4) | instskip(NEXT) | instid1(VALU_DEP_4)
	v_add_f64_e32 v[245:246], v[169:170], v[6:7]
	v_fma_f64 v[16:17], v[88:89], v[76:77], -v[2:3]
	v_mul_f64_e32 v[2:3], v[88:89], v[78:79]
	v_add_f64_e64 v[18:19], v[169:170], -v[6:7]
	v_mul_f64_e32 v[146:147], s[26:27], v[12:13]
	v_mul_f64_e32 v[148:149], s[28:29], v[12:13]
	s_delay_alu instid0(VALU_DEP_4)
	v_fma_f64 v[22:23], v[90:91], v[76:77], v[2:3]
	s_wait_loadcnt 0x0
	v_mul_f64_e32 v[2:3], v[96:97], v[86:87]
	v_mul_f64_e32 v[247:248], s[24:25], v[18:19]
	;; [unrolled: 1-line block ×5, first 2 shown]
	v_fma_f64 v[8:9], v[98:99], v[84:85], v[2:3]
	v_mul_f64_e32 v[2:3], v[98:99], v[86:87]
	s_delay_alu instid0(VALU_DEP_2) | instskip(NEXT) | instid1(VALU_DEP_2)
	v_add_f64_e64 v[14:15], v[22:23], -v[8:9]
	v_fma_f64 v[10:11], v[96:97], v[84:85], -v[2:3]
	s_clause 0x1
	global_load_b128 v[88:91], v[0:1], off offset:2336
	global_load_b128 v[96:99], v[0:1], off offset:2352
	v_add_f64_e32 v[185:186], v[22:23], v[8:9]
	v_mul_f64_e32 v[211:212], s[26:27], v[14:15]
	v_add_f64_e32 v[181:182], v[16:17], v[10:11]
	v_add_f64_e64 v[20:21], v[16:17], -v[10:11]
	v_mul_f64_e32 v[221:222], s[30:31], v[14:15]
	v_mul_f64_e32 v[251:252], s[34:35], v[14:15]
	;; [unrolled: 1-line block ×3, first 2 shown]
	s_delay_alu instid0(VALU_DEP_4) | instskip(SKIP_4) | instid1(VALU_DEP_1)
	v_mul_f64_e32 v[215:216], s[26:27], v[20:21]
	v_mul_f64_e32 v[233:234], s[30:31], v[20:21]
	;; [unrolled: 1-line block ×3, first 2 shown]
	s_wait_loadcnt 0x1
	v_mul_f64_e32 v[2:3], v[94:95], v[90:91]
	v_fma_f64 v[128:129], v[92:93], v[88:89], -v[2:3]
	v_mul_f64_e32 v[2:3], v[92:93], v[90:91]
	s_delay_alu instid0(VALU_DEP_1)
	v_fma_f64 v[130:131], v[94:95], v[88:89], v[2:3]
	s_clause 0x1
	global_load_b128 v[92:95], v[0:1], off offset:2416
	global_load_b128 v[100:103], v[0:1], off offset:2400
	s_wait_loadcnt 0x1
	v_mul_f64_e32 v[2:3], v[110:111], v[94:95]
	s_delay_alu instid0(VALU_DEP_1) | instskip(SKIP_1) | instid1(VALU_DEP_2)
	v_fma_f64 v[152:153], v[108:109], v[92:93], -v[2:3]
	v_mul_f64_e32 v[2:3], v[108:109], v[94:95]
	v_add_f64_e32 v[189:190], v[128:129], v[152:153]
	s_delay_alu instid0(VALU_DEP_2) | instskip(SKIP_2) | instid1(VALU_DEP_3)
	v_fma_f64 v[154:155], v[110:111], v[92:93], v[2:3]
	v_mul_f64_e32 v[2:3], v[124:125], v[98:99]
	v_add_f64_e64 v[134:135], v[128:129], -v[152:153]
	v_add_f64_e64 v[132:133], v[130:131], -v[154:155]
	s_delay_alu instid0(VALU_DEP_3)
	v_fma_f64 v[163:164], v[126:127], v[96:97], v[2:3]
	v_mul_f64_e32 v[2:3], v[126:127], v[98:99]
	v_add_f64_e32 v[193:194], v[130:131], v[154:155]
	v_mul_f64_e32 v[223:224], s[30:31], v[134:135]
	v_mul_f64_e32 v[142:143], s[26:27], v[134:135]
	;; [unrolled: 1-line block ×4, first 2 shown]
	v_fma_f64 v[165:166], v[124:125], v[96:97], -v[2:3]
	s_wait_loadcnt 0x0
	v_mul_f64_e32 v[2:3], v[104:105], v[102:103]
	s_delay_alu instid0(VALU_DEP_1) | instskip(SKIP_1) | instid1(VALU_DEP_2)
	v_fma_f64 v[159:160], v[106:107], v[100:101], v[2:3]
	v_mul_f64_e32 v[2:3], v[106:107], v[102:103]
	v_add_f64_e64 v[187:188], v[163:164], -v[159:160]
	s_delay_alu instid0(VALU_DEP_2)
	v_fma_f64 v[161:162], v[104:105], v[100:101], -v[2:3]
	s_clause 0x1
	global_load_b128 v[104:107], v[0:1], off offset:2368
	global_load_b128 v[108:111], v[0:1], off offset:2384
	v_mul_f64_e32 v[2:3], s[20:21], v[14:15]
	v_add_f64_e32 v[201:202], v[163:164], v[159:160]
	v_fma_f64 v[14:15], v[181:182], s[10:11], v[140:141]
	s_clause 0x1
	scratch_store_b64 off, v[6:7], off offset:132
	scratch_store_b64 off, v[4:5], off offset:124
	v_mul_f64_e32 v[4:5], s[20:21], v[20:21]
	v_mul_f64_e32 v[217:218], s[34:35], v[187:188]
	v_add_f64_e32 v[197:198], v[165:166], v[161:162]
	v_add_f64_e64 v[191:192], v[165:166], -v[161:162]
	scratch_store_b64 off, v[2:3], off offset:188 ; 8-byte Folded Spill
	v_fma_f64 v[2:3], v[181:182], s[2:3], v[2:3]
	s_clause 0x6
	scratch_store_b64 off, v[10:11], off offset:148
	scratch_store_b64 off, v[16:17], off offset:156
	;; [unrolled: 1-line block ×7, first 2 shown]
	v_fma_f64 v[4:5], v[185:186], s[2:3], -v[4:5]
	v_mul_f64_e32 v[10:11], s[20:21], v[12:13]
	v_mul_f64_e32 v[16:17], s[20:21], v[18:19]
	;; [unrolled: 1-line block ×3, first 2 shown]
	s_mov_b32 s21, 0x3fed1bb4
	v_mul_f64_e32 v[235:236], s[24:25], v[187:188]
	s_wait_alu 0xfffe
	v_mul_f64_e32 v[227:228], s[20:21], v[132:133]
	v_mul_f64_e32 v[237:238], s[20:21], v[134:135]
	v_fma_f64 v[12:13], v[245:246], s[18:19], v[148:149]
	v_fma_f64 v[18:19], v[185:186], s[10:11], -v[144:145]
	v_mul_f64_e32 v[225:226], s[34:35], v[191:192]
	v_mul_f64_e32 v[239:240], s[24:25], v[191:192]
	s_delay_alu instid0(VALU_DEP_4) | instskip(NEXT) | instid1(VALU_DEP_1)
	v_add_f64_e32 v[12:13], v[120:121], v[12:13]
	v_add_f64_e32 v[12:13], v[14:15], v[12:13]
	v_fma_f64 v[14:15], v[249:250], s[18:19], -v[150:151]
	s_delay_alu instid0(VALU_DEP_1) | instskip(NEXT) | instid1(VALU_DEP_1)
	v_add_f64_e32 v[14:15], v[122:123], v[14:15]
	v_add_f64_e32 v[14:15], v[18:19], v[14:15]
	s_wait_loadcnt 0x1
	v_mul_f64_e32 v[0:1], v[114:115], v[106:107]
	s_delay_alu instid0(VALU_DEP_1) | instskip(SKIP_1) | instid1(VALU_DEP_1)
	v_fma_f64 v[171:172], v[112:113], v[104:105], -v[0:1]
	v_mul_f64_e32 v[0:1], v[112:113], v[106:107]
	v_fma_f64 v[175:176], v[114:115], v[104:105], v[0:1]
	s_wait_loadcnt 0x0
	v_mul_f64_e32 v[0:1], v[118:119], v[110:111]
	s_delay_alu instid0(VALU_DEP_1) | instskip(SKIP_1) | instid1(VALU_DEP_2)
	v_fma_f64 v[173:174], v[116:117], v[108:109], -v[0:1]
	v_mul_f64_e32 v[0:1], v[116:117], v[110:111]
	v_add_f64_e32 v[205:206], v[171:172], v[173:174]
	s_delay_alu instid0(VALU_DEP_2) | instskip(SKIP_2) | instid1(VALU_DEP_3)
	v_fma_f64 v[177:178], v[118:119], v[108:109], v[0:1]
	v_fma_f64 v[0:1], v[245:246], s[10:11], v[243:244]
	v_add_f64_e64 v[199:200], v[171:172], -v[173:174]
	v_add_f64_e64 v[195:196], v[175:176], -v[177:178]
	s_delay_alu instid0(VALU_DEP_3) | instskip(SKIP_1) | instid1(VALU_DEP_4)
	v_add_f64_e32 v[0:1], v[120:121], v[0:1]
	v_add_f64_e32 v[209:210], v[175:176], v[177:178]
	v_mul_f64_e32 v[207:208], s[28:29], v[199:200]
	v_mul_f64_e32 v[231:232], s[36:37], v[199:200]
	;; [unrolled: 1-line block ×4, first 2 shown]
	v_add_f64_e32 v[0:1], v[2:3], v[0:1]
	v_fma_f64 v[2:3], v[249:250], s[10:11], -v[247:248]
	v_mul_f64_e32 v[219:220], s[36:37], v[195:196]
	v_mul_f64_e32 v[229:230], s[26:27], v[195:196]
	;; [unrolled: 1-line block ×3, first 2 shown]
	s_delay_alu instid0(VALU_DEP_4) | instskip(NEXT) | instid1(VALU_DEP_1)
	v_add_f64_e32 v[2:3], v[122:123], v[2:3]
	v_add_f64_e32 v[2:3], v[4:5], v[2:3]
	v_mul_f64_e32 v[4:5], s[22:23], v[132:133]
	scratch_store_b64 off, v[4:5], off offset:204 ; 8-byte Folded Spill
	v_fma_f64 v[4:5], v[189:190], s[12:13], v[4:5]
	s_delay_alu instid0(VALU_DEP_1) | instskip(SKIP_3) | instid1(VALU_DEP_1)
	v_add_f64_e32 v[0:1], v[4:5], v[0:1]
	v_mul_f64_e32 v[4:5], s[22:23], v[134:135]
	scratch_store_b64 off, v[4:5], off offset:212 ; 8-byte Folded Spill
	v_fma_f64 v[4:5], v[193:194], s[12:13], -v[4:5]
	v_add_f64_e32 v[2:3], v[4:5], v[2:3]
	v_mul_f64_e32 v[4:5], s[26:27], v[187:188]
	scratch_store_b64 off, v[4:5], off offset:220 ; 8-byte Folded Spill
	v_fma_f64 v[4:5], v[197:198], s[14:15], v[4:5]
	s_delay_alu instid0(VALU_DEP_1) | instskip(SKIP_3) | instid1(VALU_DEP_1)
	v_add_f64_e32 v[0:1], v[4:5], v[0:1]
	v_mul_f64_e32 v[4:5], s[26:27], v[191:192]
	scratch_store_b64 off, v[4:5], off offset:228 ; 8-byte Folded Spill
	v_fma_f64 v[4:5], v[201:202], s[14:15], -v[4:5]
	v_add_f64_e32 v[2:3], v[4:5], v[2:3]
	v_fma_f64 v[4:5], v[205:206], s[18:19], v[203:204]
	s_delay_alu instid0(VALU_DEP_1) | instskip(SKIP_2) | instid1(VALU_DEP_2)
	v_add_f64_e32 v[112:113], v[4:5], v[0:1]
	v_fma_f64 v[0:1], v[209:210], s[18:19], -v[207:208]
	v_fma_f64 v[4:5], v[185:186], s[14:15], -v[215:216]
	v_add_f64_e32 v[114:115], v[0:1], v[2:3]
	v_fma_f64 v[0:1], v[245:246], s[2:3], v[10:11]
	v_fma_f64 v[2:3], v[181:182], s[14:15], v[211:212]
	s_delay_alu instid0(VALU_DEP_2) | instskip(NEXT) | instid1(VALU_DEP_1)
	v_add_f64_e32 v[0:1], v[120:121], v[0:1]
	v_add_f64_e32 v[0:1], v[2:3], v[0:1]
	v_fma_f64 v[2:3], v[249:250], s[2:3], -v[16:17]
	s_delay_alu instid0(VALU_DEP_1) | instskip(NEXT) | instid1(VALU_DEP_1)
	v_add_f64_e32 v[2:3], v[122:123], v[2:3]
	v_add_f64_e32 v[2:3], v[4:5], v[2:3]
	v_fma_f64 v[4:5], v[189:190], s[18:19], v[213:214]
	s_delay_alu instid0(VALU_DEP_1) | instskip(SKIP_1) | instid1(VALU_DEP_1)
	v_add_f64_e32 v[0:1], v[4:5], v[0:1]
	v_fma_f64 v[4:5], v[193:194], s[18:19], -v[223:224]
	v_add_f64_e32 v[2:3], v[4:5], v[2:3]
	v_fma_f64 v[4:5], v[197:198], s[12:13], v[217:218]
	s_delay_alu instid0(VALU_DEP_1) | instskip(SKIP_1) | instid1(VALU_DEP_1)
	v_add_f64_e32 v[0:1], v[4:5], v[0:1]
	v_fma_f64 v[4:5], v[201:202], s[12:13], -v[225:226]
	v_add_f64_e32 v[2:3], v[4:5], v[2:3]
	v_fma_f64 v[4:5], v[205:206], s[10:11], v[219:220]
	s_delay_alu instid0(VALU_DEP_1) | instskip(SKIP_2) | instid1(VALU_DEP_2)
	v_add_f64_e32 v[116:117], v[4:5], v[0:1]
	v_fma_f64 v[0:1], v[209:210], s[10:11], -v[231:232]
	v_fma_f64 v[4:5], v[185:186], s[18:19], -v[233:234]
	v_add_f64_e32 v[118:119], v[0:1], v[2:3]
	v_fma_f64 v[0:1], v[245:246], s[12:13], v[22:23]
	v_fma_f64 v[2:3], v[181:182], s[18:19], v[221:222]
	s_delay_alu instid0(VALU_DEP_2) | instskip(NEXT) | instid1(VALU_DEP_1)
	v_add_f64_e32 v[0:1], v[120:121], v[0:1]
	v_add_f64_e32 v[0:1], v[2:3], v[0:1]
	v_fma_f64 v[2:3], v[249:250], s[12:13], -v[136:137]
	s_delay_alu instid0(VALU_DEP_1) | instskip(NEXT) | instid1(VALU_DEP_1)
	v_add_f64_e32 v[2:3], v[122:123], v[2:3]
	v_add_f64_e32 v[2:3], v[4:5], v[2:3]
	v_fma_f64 v[4:5], v[189:190], s[2:3], v[227:228]
	s_delay_alu instid0(VALU_DEP_1) | instskip(SKIP_1) | instid1(VALU_DEP_1)
	v_add_f64_e32 v[0:1], v[4:5], v[0:1]
	v_fma_f64 v[4:5], v[193:194], s[2:3], -v[237:238]
	v_add_f64_e32 v[2:3], v[4:5], v[2:3]
	v_fma_f64 v[4:5], v[197:198], s[10:11], v[235:236]
	s_delay_alu instid0(VALU_DEP_1) | instskip(SKIP_1) | instid1(VALU_DEP_1)
	v_add_f64_e32 v[0:1], v[4:5], v[0:1]
	v_fma_f64 v[4:5], v[201:202], s[10:11], -v[239:240]
	;; [unrolled: 5-line block ×3, first 2 shown]
	v_add_f64_e32 v[126:127], v[0:1], v[2:3]
	v_fma_f64 v[0:1], v[245:246], s[14:15], v[146:147]
	v_fma_f64 v[2:3], v[181:182], s[12:13], v[251:252]
	s_delay_alu instid0(VALU_DEP_2) | instskip(NEXT) | instid1(VALU_DEP_1)
	v_add_f64_e32 v[0:1], v[120:121], v[0:1]
	v_add_f64_e32 v[0:1], v[2:3], v[0:1]
	v_fma_f64 v[2:3], v[249:250], s[14:15], -v[179:180]
	s_delay_alu instid0(VALU_DEP_1) | instskip(SKIP_1) | instid1(VALU_DEP_1)
	v_add_f64_e32 v[4:5], v[122:123], v[2:3]
	v_mul_f64_e32 v[2:3], s[34:35], v[20:21]
	v_fma_f64 v[6:7], v[185:186], s[12:13], -v[2:3]
	s_delay_alu instid0(VALU_DEP_1) | instskip(SKIP_1) | instid1(VALU_DEP_1)
	v_add_f64_e32 v[6:7], v[6:7], v[4:5]
	v_fma_f64 v[4:5], v[189:190], s[10:11], v[253:254]
	v_add_f64_e32 v[8:9], v[4:5], v[0:1]
	v_mul_f64_e32 v[4:5], s[24:25], v[134:135]
	s_delay_alu instid0(VALU_DEP_1) | instskip(NEXT) | instid1(VALU_DEP_1)
	v_fma_f64 v[0:1], v[193:194], s[10:11], -v[4:5]
	v_add_f64_e32 v[128:129], v[0:1], v[6:7]
	v_mul_f64_e32 v[0:1], s[28:29], v[187:188]
	s_delay_alu instid0(VALU_DEP_1) | instskip(NEXT) | instid1(VALU_DEP_1)
	v_fma_f64 v[6:7], v[197:198], s[18:19], v[0:1]
	v_add_f64_e32 v[8:9], v[6:7], v[8:9]
	v_mul_f64_e32 v[6:7], s[28:29], v[191:192]
	s_delay_alu instid0(VALU_DEP_1) | instskip(NEXT) | instid1(VALU_DEP_1)
	v_fma_f64 v[130:131], v[201:202], s[18:19], -v[6:7]
	v_add_f64_e32 v[130:131], v[130:131], v[128:129]
	v_fma_f64 v[128:129], v[205:206], s[2:3], v[156:157]
	s_delay_alu instid0(VALU_DEP_1) | instskip(SKIP_1) | instid1(VALU_DEP_1)
	v_add_f64_e32 v[128:129], v[128:129], v[8:9]
	v_mul_f64_e32 v[8:9], s[20:21], v[199:200]
	v_fma_f64 v[138:139], v[209:210], s[2:3], -v[8:9]
	s_delay_alu instid0(VALU_DEP_1) | instskip(SKIP_1) | instid1(VALU_DEP_1)
	v_add_f64_e32 v[130:131], v[138:139], v[130:131]
	v_mul_f64_e32 v[138:139], s[26:27], v[132:133]
	v_fma_f64 v[18:19], v[189:190], s[14:15], v[138:139]
	s_delay_alu instid0(VALU_DEP_1) | instskip(SKIP_1) | instid1(VALU_DEP_1)
	v_add_f64_e32 v[12:13], v[18:19], v[12:13]
	v_fma_f64 v[18:19], v[193:194], s[14:15], -v[142:143]
	v_add_f64_e32 v[14:15], v[18:19], v[14:15]
	v_mul_f64_e32 v[18:19], s[20:21], v[187:188]
	s_delay_alu instid0(VALU_DEP_1) | instskip(NEXT) | instid1(VALU_DEP_1)
	v_fma_f64 v[20:21], v[197:198], s[2:3], v[18:19]
	v_add_f64_e32 v[132:133], v[20:21], v[12:13]
	v_mul_f64_e32 v[20:21], s[20:21], v[191:192]
	s_delay_alu instid0(VALU_DEP_1) | instskip(NEXT) | instid1(VALU_DEP_1)
	v_fma_f64 v[12:13], v[201:202], s[2:3], -v[20:21]
	v_add_f64_e32 v[134:135], v[12:13], v[14:15]
	v_mul_f64_e32 v[12:13], s[22:23], v[195:196]
	v_mul_f64_e32 v[14:15], s[22:23], v[199:200]
	s_delay_alu instid0(VALU_DEP_2) | instskip(NEXT) | instid1(VALU_DEP_1)
	v_fma_f64 v[187:188], v[205:206], s[12:13], v[12:13]
	v_add_f64_e32 v[132:133], v[187:188], v[132:133]
	s_delay_alu instid0(VALU_DEP_3) | instskip(NEXT) | instid1(VALU_DEP_1)
	v_fma_f64 v[187:188], v[209:210], s[12:13], -v[14:15]
	v_add_f64_e32 v[134:135], v[187:188], v[134:135]
	s_and_saveexec_b32 s1, s0
	s_cbranch_execz .LBB0_11
; %bb.10:
	v_mul_f64_e32 v[187:188], s[18:19], v[249:250]
	v_mul_f64_e32 v[191:192], s[10:11], v[245:246]
	v_add_f64_e32 v[167:168], v[122:123], v[167:168]
	v_add_f64_e32 v[169:170], v[120:121], v[169:170]
	s_delay_alu instid0(VALU_DEP_4) | instskip(SKIP_2) | instid1(VALU_DEP_3)
	v_add_f64_e32 v[150:151], v[150:151], v[187:188]
	v_mul_f64_e32 v[187:188], s[18:19], v[245:246]
	v_add_f64_e64 v[191:192], v[191:192], -v[243:244]
	v_add_f64_e32 v[150:151], v[122:123], v[150:151]
	s_delay_alu instid0(VALU_DEP_3) | instskip(SKIP_1) | instid1(VALU_DEP_2)
	v_add_f64_e64 v[148:149], v[187:188], -v[148:149]
	v_mul_f64_e32 v[187:188], s[14:15], v[249:250]
	v_add_f64_e32 v[148:149], v[120:121], v[148:149]
	s_delay_alu instid0(VALU_DEP_2) | instskip(SKIP_1) | instid1(VALU_DEP_2)
	v_add_f64_e32 v[179:180], v[179:180], v[187:188]
	v_mul_f64_e32 v[187:188], s[14:15], v[245:246]
	v_add_f64_e32 v[179:180], v[122:123], v[179:180]
	s_delay_alu instid0(VALU_DEP_2) | instskip(SKIP_1) | instid1(VALU_DEP_2)
	v_add_f64_e64 v[146:147], v[187:188], -v[146:147]
	v_mul_f64_e32 v[187:188], s[12:13], v[249:250]
	v_add_f64_e32 v[146:147], v[120:121], v[146:147]
	s_delay_alu instid0(VALU_DEP_2) | instskip(SKIP_1) | instid1(VALU_DEP_2)
	v_add_f64_e32 v[136:137], v[136:137], v[187:188]
	v_mul_f64_e32 v[187:188], s[2:3], v[249:250]
	v_add_f64_e32 v[136:137], v[122:123], v[136:137]
	s_delay_alu instid0(VALU_DEP_2) | instskip(SKIP_1) | instid1(VALU_DEP_2)
	v_add_f64_e32 v[16:17], v[16:17], v[187:188]
	v_mul_f64_e32 v[187:188], s[2:3], v[245:246]
	v_add_f64_e32 v[16:17], v[122:123], v[16:17]
	s_delay_alu instid0(VALU_DEP_2) | instskip(SKIP_1) | instid1(VALU_DEP_2)
	v_add_f64_e64 v[10:11], v[187:188], -v[10:11]
	v_mul_f64_e32 v[187:188], s[12:13], v[245:246]
	v_add_f64_e32 v[195:196], v[120:121], v[10:11]
	v_mul_f64_e32 v[10:11], s[10:11], v[185:186]
	s_delay_alu instid0(VALU_DEP_3) | instskip(SKIP_1) | instid1(VALU_DEP_3)
	v_add_f64_e64 v[22:23], v[187:188], -v[22:23]
	v_mul_f64_e32 v[187:188], s[10:11], v[249:250]
	v_add_f64_e32 v[10:11], v[144:145], v[10:11]
	v_mul_f64_e32 v[144:145], s[10:11], v[181:182]
	s_delay_alu instid0(VALU_DEP_4) | instskip(NEXT) | instid1(VALU_DEP_4)
	v_add_f64_e32 v[22:23], v[120:121], v[22:23]
	v_add_f64_e32 v[187:188], v[247:248], v[187:188]
	;; [unrolled: 1-line block ×4, first 2 shown]
	v_add_f64_e64 v[140:141], v[144:145], -v[140:141]
	v_mul_f64_e32 v[144:145], s[14:15], v[193:194]
	v_add_f64_e32 v[122:123], v[122:123], v[187:188]
	s_delay_alu instid0(VALU_DEP_3) | instskip(NEXT) | instid1(VALU_DEP_3)
	v_add_f64_e32 v[140:141], v[140:141], v[148:149]
	v_add_f64_e32 v[142:143], v[142:143], v[144:145]
	v_mul_f64_e32 v[144:145], s[14:15], v[189:190]
	s_delay_alu instid0(VALU_DEP_2) | instskip(NEXT) | instid1(VALU_DEP_2)
	v_add_f64_e32 v[10:11], v[142:143], v[10:11]
	v_add_f64_e64 v[138:139], v[144:145], -v[138:139]
	v_mul_f64_e32 v[144:145], s[2:3], v[201:202]
	s_delay_alu instid0(VALU_DEP_2) | instskip(NEXT) | instid1(VALU_DEP_2)
	v_add_f64_e32 v[138:139], v[138:139], v[140:141]
	v_add_f64_e32 v[20:21], v[20:21], v[144:145]
	v_mul_f64_e32 v[144:145], s[2:3], v[197:198]
	v_mul_f64_e32 v[140:141], s[12:13], v[205:206]
	s_delay_alu instid0(VALU_DEP_3) | instskip(NEXT) | instid1(VALU_DEP_3)
	v_add_f64_e32 v[10:11], v[20:21], v[10:11]
	v_add_f64_e64 v[18:19], v[144:145], -v[18:19]
	v_mul_f64_e32 v[144:145], s[12:13], v[209:210]
	s_delay_alu instid0(VALU_DEP_4) | instskip(SKIP_1) | instid1(VALU_DEP_4)
	v_add_f64_e64 v[140:141], v[140:141], -v[12:13]
	v_mul_f64_e32 v[20:21], s[18:19], v[201:202]
	v_add_f64_e32 v[18:19], v[18:19], v[138:139]
	s_delay_alu instid0(VALU_DEP_4) | instskip(SKIP_1) | instid1(VALU_DEP_4)
	v_add_f64_e32 v[14:15], v[14:15], v[144:145]
	v_mul_f64_e32 v[138:139], s[10:11], v[197:198]
	v_add_f64_e32 v[6:7], v[6:7], v[20:21]
	v_mul_f64_e32 v[20:21], s[18:19], v[197:198]
	s_delay_alu instid0(VALU_DEP_4)
	v_add_f64_e32 v[12:13], v[14:15], v[10:11]
	v_mul_f64_e32 v[14:15], s[12:13], v[185:186]
	v_add_f64_e32 v[10:11], v[140:141], v[18:19]
	v_mul_f64_e32 v[18:19], s[10:11], v[193:194]
	v_add_f64_e64 v[0:1], v[20:21], -v[0:1]
	v_mul_f64_e32 v[20:21], s[2:3], v[209:210]
	v_add_f64_e64 v[138:139], v[138:139], -v[235:236]
	scratch_load_b64 v[140:141], off, off offset:220 th:TH_LOAD_LU ; 8-byte Folded Reload
	v_add_f64_e32 v[2:3], v[2:3], v[14:15]
	v_mul_f64_e32 v[14:15], s[12:13], v[181:182]
	v_add_f64_e32 v[4:5], v[4:5], v[18:19]
	v_mul_f64_e32 v[18:19], s[10:11], v[189:190]
	;; [unrolled: 2-line block ×3, first 2 shown]
	v_add_f64_e32 v[2:3], v[2:3], v[179:180]
	v_add_f64_e64 v[14:15], v[14:15], -v[251:252]
	v_add_f64_e64 v[18:19], v[18:19], -v[253:254]
	s_delay_alu instid0(VALU_DEP_4) | instskip(NEXT) | instid1(VALU_DEP_4)
	v_add_f64_e64 v[20:21], v[20:21], -v[217:218]
	v_add_f64_e32 v[2:3], v[4:5], v[2:3]
	s_delay_alu instid0(VALU_DEP_4) | instskip(NEXT) | instid1(VALU_DEP_2)
	v_add_f64_e32 v[14:15], v[14:15], v[146:147]
	v_add_f64_e32 v[2:3], v[6:7], v[2:3]
	s_delay_alu instid0(VALU_DEP_2)
	v_add_f64_e32 v[4:5], v[18:19], v[14:15]
	v_mul_f64_e32 v[14:15], s[2:3], v[205:206]
	v_mul_f64_e32 v[6:7], s[14:15], v[181:182]
	;; [unrolled: 1-line block ×3, first 2 shown]
	v_add_f64_e32 v[2:3], v[8:9], v[2:3]
	v_add_f64_e32 v[0:1], v[0:1], v[4:5]
	v_add_f64_e64 v[14:15], v[14:15], -v[156:157]
	v_mul_f64_e32 v[4:5], s[14:15], v[185:186]
	v_add_f64_e64 v[6:7], v[6:7], -v[211:212]
	v_mul_f64_e32 v[8:9], s[18:19], v[193:194]
	v_add_f64_e32 v[18:19], v[225:226], v[18:19]
	v_add_f64_e32 v[0:1], v[14:15], v[0:1]
	;; [unrolled: 1-line block ×3, first 2 shown]
	v_mul_f64_e32 v[14:15], s[18:19], v[189:190]
	v_add_f64_e32 v[8:9], v[223:224], v[8:9]
	v_add_f64_e32 v[6:7], v[6:7], v[195:196]
	s_delay_alu instid0(VALU_DEP_4) | instskip(NEXT) | instid1(VALU_DEP_4)
	v_add_f64_e32 v[4:5], v[4:5], v[16:17]
	v_add_f64_e64 v[14:15], v[14:15], -v[213:214]
	v_mul_f64_e32 v[16:17], s[10:11], v[209:210]
	s_delay_alu instid0(VALU_DEP_3) | instskip(NEXT) | instid1(VALU_DEP_3)
	v_add_f64_e32 v[4:5], v[8:9], v[4:5]
	v_add_f64_e32 v[6:7], v[14:15], v[6:7]
	v_mul_f64_e32 v[8:9], s[10:11], v[205:206]
	s_delay_alu instid0(VALU_DEP_4) | instskip(NEXT) | instid1(VALU_DEP_4)
	v_add_f64_e32 v[16:17], v[231:232], v[16:17]
	v_add_f64_e32 v[4:5], v[18:19], v[4:5]
	s_delay_alu instid0(VALU_DEP_4) | instskip(NEXT) | instid1(VALU_DEP_4)
	v_add_f64_e32 v[14:15], v[20:21], v[6:7]
	v_add_f64_e64 v[8:9], v[8:9], -v[219:220]
	v_mul_f64_e32 v[18:19], s[2:3], v[189:190]
	v_mul_f64_e32 v[20:21], s[10:11], v[201:202]
	v_add_f64_e32 v[6:7], v[16:17], v[4:5]
	v_mul_f64_e32 v[16:17], s[2:3], v[193:194]
	v_add_f64_e32 v[4:5], v[8:9], v[14:15]
	v_mul_f64_e32 v[8:9], s[18:19], v[185:186]
	v_mul_f64_e32 v[14:15], s[18:19], v[181:182]
	v_add_f64_e64 v[18:19], v[18:19], -v[227:228]
	v_add_f64_e32 v[20:21], v[239:240], v[20:21]
	v_add_f64_e32 v[16:17], v[237:238], v[16:17]
	;; [unrolled: 1-line block ×3, first 2 shown]
	v_add_f64_e64 v[14:15], v[14:15], -v[221:222]
	s_delay_alu instid0(VALU_DEP_2) | instskip(NEXT) | instid1(VALU_DEP_2)
	v_add_f64_e32 v[8:9], v[8:9], v[136:137]
	v_add_f64_e32 v[14:15], v[14:15], v[22:23]
	v_mul_f64_e32 v[22:23], s[14:15], v[209:210]
	scratch_load_b64 v[136:137], off, off offset:204 th:TH_LOAD_LU ; 8-byte Folded Reload
	v_add_f64_e32 v[8:9], v[16:17], v[8:9]
	v_add_f64_e32 v[14:15], v[18:19], v[14:15]
	v_mul_f64_e32 v[16:17], s[14:15], v[205:206]
	v_add_f64_e32 v[22:23], v[241:242], v[22:23]
	s_delay_alu instid0(VALU_DEP_4) | instskip(NEXT) | instid1(VALU_DEP_4)
	v_add_f64_e32 v[8:9], v[20:21], v[8:9]
	v_add_f64_e32 v[14:15], v[138:139], v[14:15]
	s_delay_alu instid0(VALU_DEP_4)
	v_add_f64_e64 v[18:19], v[16:17], -v[229:230]
	s_clause 0x1
	scratch_load_b64 v[20:21], off, off offset:188 th:TH_LOAD_LU
	scratch_load_b64 v[138:139], off, off offset:228 th:TH_LOAD_LU
	v_add_f64_e32 v[16:17], v[22:23], v[8:9]
	scratch_load_b64 v[22:23], off, off offset:212 th:TH_LOAD_LU ; 8-byte Folded Reload
	v_add_f64_e32 v[14:15], v[18:19], v[14:15]
	scratch_load_b64 v[18:19], off, off offset:196 th:TH_LOAD_LU ; 8-byte Folded Reload
	v_mul_f64_e32 v[8:9], s[2:3], v[185:186]
	s_wait_loadcnt 0x0
	s_delay_alu instid0(VALU_DEP_1) | instskip(SKIP_1) | instid1(VALU_DEP_2)
	v_add_f64_e32 v[8:9], v[18:19], v[8:9]
	v_mul_f64_e32 v[18:19], s[2:3], v[181:182]
	v_add_f64_e32 v[8:9], v[8:9], v[122:123]
	s_delay_alu instid0(VALU_DEP_2) | instskip(SKIP_1) | instid1(VALU_DEP_2)
	v_add_f64_e64 v[18:19], v[18:19], -v[20:21]
	v_mul_f64_e32 v[20:21], s[12:13], v[193:194]
	v_add_f64_e32 v[18:19], v[18:19], v[120:121]
	s_delay_alu instid0(VALU_DEP_2) | instskip(SKIP_2) | instid1(VALU_DEP_3)
	v_add_f64_e32 v[20:21], v[22:23], v[20:21]
	v_mul_f64_e32 v[22:23], s[12:13], v[189:190]
	v_mul_f64_e32 v[120:121], s[18:19], v[209:210]
	v_add_f64_e32 v[8:9], v[20:21], v[8:9]
	s_delay_alu instid0(VALU_DEP_3) | instskip(SKIP_1) | instid1(VALU_DEP_4)
	v_add_f64_e64 v[22:23], v[22:23], -v[136:137]
	v_mul_f64_e32 v[136:137], s[14:15], v[201:202]
	v_add_f64_e32 v[120:121], v[207:208], v[120:121]
	v_mul_f64_e32 v[20:21], s[18:19], v[205:206]
	s_delay_alu instid0(VALU_DEP_4) | instskip(NEXT) | instid1(VALU_DEP_4)
	v_add_f64_e32 v[18:19], v[22:23], v[18:19]
	v_add_f64_e32 v[136:137], v[138:139], v[136:137]
	v_mul_f64_e32 v[138:139], s[14:15], v[197:198]
	s_delay_alu instid0(VALU_DEP_4) | instskip(NEXT) | instid1(VALU_DEP_3)
	v_add_f64_e64 v[22:23], v[20:21], -v[203:204]
	v_add_f64_e32 v[8:9], v[136:137], v[8:9]
	s_delay_alu instid0(VALU_DEP_1) | instskip(SKIP_4) | instid1(VALU_DEP_1)
	v_add_f64_e32 v[20:21], v[120:121], v[8:9]
	s_clause 0x1
	scratch_load_b64 v[8:9], off, off offset:164 th:TH_LOAD_LU
	scratch_load_b64 v[120:121], off, off offset:180 th:TH_LOAD_LU
	v_add_f64_e64 v[138:139], v[138:139], -v[140:141]
	v_add_f64_e32 v[18:19], v[138:139], v[18:19]
	s_delay_alu instid0(VALU_DEP_1) | instskip(SKIP_4) | instid1(VALU_DEP_1)
	v_add_f64_e32 v[18:19], v[22:23], v[18:19]
	scratch_load_b64 v[22:23], off, off offset:156 th:TH_LOAD_LU ; 8-byte Folded Reload
	s_wait_loadcnt 0x2
	v_add_f64_e32 v[8:9], v[167:168], v[8:9]
	s_wait_loadcnt 0x1
	v_add_f64_e32 v[8:9], v[8:9], v[120:121]
	scratch_load_b64 v[120:121], off, off offset:172 th:TH_LOAD_LU ; 8-byte Folded Reload
	v_add_f64_e32 v[8:9], v[8:9], v[163:164]
	s_wait_loadcnt 0x1
	v_add_f64_e32 v[22:23], v[169:170], v[22:23]
	s_delay_alu instid0(VALU_DEP_2) | instskip(NEXT) | instid1(VALU_DEP_1)
	v_add_f64_e32 v[8:9], v[8:9], v[175:176]
	v_add_f64_e32 v[8:9], v[8:9], v[177:178]
	s_delay_alu instid0(VALU_DEP_1) | instskip(NEXT) | instid1(VALU_DEP_1)
	v_add_f64_e32 v[8:9], v[8:9], v[159:160]
	v_add_f64_e32 v[8:9], v[8:9], v[154:155]
	s_wait_loadcnt 0x0
	v_add_f64_e32 v[22:23], v[22:23], v[120:121]
	scratch_load_b64 v[120:121], off, off offset:140 th:TH_LOAD_LU ; 8-byte Folded Reload
	v_add_f64_e32 v[22:23], v[22:23], v[165:166]
	s_delay_alu instid0(VALU_DEP_1) | instskip(NEXT) | instid1(VALU_DEP_1)
	v_add_f64_e32 v[22:23], v[22:23], v[171:172]
	v_add_f64_e32 v[22:23], v[22:23], v[173:174]
	s_delay_alu instid0(VALU_DEP_1) | instskip(NEXT) | instid1(VALU_DEP_1)
	v_add_f64_e32 v[22:23], v[22:23], v[161:162]
	v_add_f64_e32 v[22:23], v[22:23], v[152:153]
	s_wait_loadcnt 0x0
	v_add_f64_e32 v[8:9], v[8:9], v[120:121]
	scratch_load_b64 v[120:121], off, off offset:148 th:TH_LOAD_LU ; 8-byte Folded Reload
	s_wait_loadcnt 0x0
	v_add_f64_e32 v[22:23], v[22:23], v[120:121]
	scratch_load_b64 v[120:121], off, off offset:124 th:TH_LOAD_LU ; 8-byte Folded Reload
	;; [unrolled: 3-line block ×3, first 2 shown]
	s_wait_loadcnt 0x0
	v_add_f64_e32 v[120:121], v[22:23], v[8:9]
	ds_store_b128 v255, v[4:7] offset:4704
	ds_store_b128 v255, v[132:135] offset:14112
	;; [unrolled: 1-line block ×9, first 2 shown]
	ds_store_b128 v255, v[120:123]
	ds_store_b128 v255, v[112:115] offset:23520
.LBB0_11:
	s_wait_alu 0xfffe
	s_or_b32 exec_lo, exec_lo, s1
	global_wb scope:SCOPE_SE
	s_wait_storecnt_dscnt 0x0
	s_barrier_signal -1
	s_barrier_wait -1
	global_inv scope:SCOPE_SE
	scratch_load_b64 v[0:1], off, off       ; 8-byte Folded Reload
	s_add_nc_u64 s[2:3], s[16:17], 0x6510
	s_wait_loadcnt 0x0
	s_clause 0x5
	global_load_b128 v[0:3], v[0:1], off offset:25872
	global_load_b128 v[4:7], v255, s[2:3] offset:8624
	global_load_b128 v[8:11], v255, s[2:3] offset:17248
	;; [unrolled: 1-line block ×5, first 2 shown]
	ds_load_b128 v[120:123], v255
	ds_load_b128 v[136:139], v255 offset:8624
	ds_load_b128 v[140:143], v255 offset:17248
	;; [unrolled: 1-line block ×5, first 2 shown]
	s_wait_loadcnt_dscnt 0x505
	v_mul_f64_e32 v[156:157], v[122:123], v[2:3]
	v_mul_f64_e32 v[2:3], v[120:121], v[2:3]
	s_wait_loadcnt_dscnt 0x404
	v_mul_f64_e32 v[159:160], v[138:139], v[6:7]
	v_mul_f64_e32 v[6:7], v[136:137], v[6:7]
	;; [unrolled: 3-line block ×6, first 2 shown]
	v_fma_f64 v[120:121], v[120:121], v[0:1], -v[156:157]
	v_fma_f64 v[122:123], v[122:123], v[0:1], v[2:3]
	v_fma_f64 v[0:1], v[136:137], v[4:5], -v[159:160]
	v_fma_f64 v[2:3], v[138:139], v[4:5], v[6:7]
	;; [unrolled: 2-line block ×6, first 2 shown]
	ds_store_b128 v255, v[120:123]
	ds_store_b128 v255, v[8:11] offset:3696
	ds_store_b128 v255, v[0:3] offset:8624
	;; [unrolled: 1-line block ×5, first 2 shown]
	s_and_saveexec_b32 s1, vcc_lo
	s_cbranch_execz .LBB0_13
; %bb.12:
	s_wait_alu 0xfffe
	v_add_co_u32 v8, s2, s2, v255
	s_wait_alu 0xf1ff
	v_add_co_ci_u32_e64 v9, null, s3, 0, s2
	s_clause 0x2
	global_load_b128 v[0:3], v[8:9], off offset:7392
	global_load_b128 v[4:7], v[8:9], off offset:16016
	;; [unrolled: 1-line block ×3, first 2 shown]
	ds_load_b128 v[12:15], v255 offset:7392
	ds_load_b128 v[16:19], v255 offset:16016
	;; [unrolled: 1-line block ×3, first 2 shown]
	s_wait_loadcnt_dscnt 0x202
	v_mul_f64_e32 v[120:121], v[14:15], v[2:3]
	v_mul_f64_e32 v[2:3], v[12:13], v[2:3]
	s_wait_loadcnt_dscnt 0x101
	v_mul_f64_e32 v[122:123], v[18:19], v[6:7]
	v_mul_f64_e32 v[6:7], v[16:17], v[6:7]
	;; [unrolled: 3-line block ×3, first 2 shown]
	v_fma_f64 v[10:11], v[12:13], v[0:1], -v[120:121]
	v_fma_f64 v[12:13], v[14:15], v[0:1], v[2:3]
	v_fma_f64 v[0:1], v[16:17], v[4:5], -v[122:123]
	v_fma_f64 v[2:3], v[18:19], v[4:5], v[6:7]
	;; [unrolled: 2-line block ×3, first 2 shown]
	ds_store_b128 v255, v[10:13] offset:7392
	ds_store_b128 v255, v[0:3] offset:16016
	;; [unrolled: 1-line block ×3, first 2 shown]
.LBB0_13:
	s_wait_alu 0xfffe
	s_or_b32 exec_lo, exec_lo, s1
	global_wb scope:SCOPE_SE
	s_wait_dscnt 0x0
	s_barrier_signal -1
	s_barrier_wait -1
	global_inv scope:SCOPE_SE
	ds_load_b128 v[144:147], v255
	ds_load_b128 v[140:143], v255 offset:3696
	ds_load_b128 v[152:155], v255 offset:8624
	;; [unrolled: 1-line block ×5, first 2 shown]
	s_and_saveexec_b32 s1, vcc_lo
	s_cbranch_execz .LBB0_15
; %bb.14:
	ds_load_b128 v[132:135], v255 offset:7392
	ds_load_b128 v[128:131], v255 offset:16016
	;; [unrolled: 1-line block ×3, first 2 shown]
.LBB0_15:
	s_wait_alu 0xfffe
	s_or_b32 exec_lo, exec_lo, s1
	s_wait_dscnt 0x0
	v_add_f64_e32 v[4:5], v[148:149], v[120:121]
	v_add_f64_e32 v[2:3], v[154:155], v[138:139]
	;; [unrolled: 1-line block ×6, first 2 shown]
	v_add_f64_e64 v[150:151], v[150:151], -v[122:123]
	s_mov_b32 s2, 0xe8584caa
	s_mov_b32 s3, 0xbfebb67a
	;; [unrolled: 1-line block ×3, first 2 shown]
	s_wait_alu 0xfffe
	s_mov_b32 s10, s2
	global_wb scope:SCOPE_SE
	s_barrier_signal -1
	s_barrier_wait -1
	global_inv scope:SCOPE_SE
	v_add_f64_e32 v[0:1], v[152:153], v[136:137]
	v_add_f64_e32 v[12:13], v[144:145], v[152:153]
	;; [unrolled: 1-line block ×4, first 2 shown]
	v_add_f64_e64 v[14:15], v[154:155], -v[138:139]
	v_add_f64_e64 v[156:157], v[128:129], -v[124:125]
	;; [unrolled: 1-line block ×3, first 2 shown]
	v_fma_f64 v[140:141], v[4:5], -0.5, v[140:141]
	v_fma_f64 v[146:147], v[2:3], -0.5, v[146:147]
	;; [unrolled: 1-line block ×3, first 2 shown]
	v_add_f64_e32 v[2:3], v[16:17], v[138:139]
	v_add_f64_e32 v[4:5], v[18:19], v[120:121]
	;; [unrolled: 1-line block ×3, first 2 shown]
	v_fma_f64 v[22:23], v[0:1], -0.5, v[144:145]
	v_add_f64_e64 v[144:145], v[152:153], -v[136:137]
	v_add_f64_e32 v[0:1], v[12:13], v[136:137]
	v_fma_f64 v[154:155], v[8:9], -0.5, v[132:133]
	v_fma_f64 v[159:160], v[10:11], -0.5, v[134:135]
	v_add_f64_e64 v[152:153], v[130:131], -v[126:127]
	v_fma_f64 v[16:17], v[150:151], s[2:3], v[140:141]
	s_wait_alu 0xfffe
	v_fma_f64 v[20:21], v[150:151], s[10:11], v[140:141]
	scratch_load_b32 v140, off, off offset:120 th:TH_LOAD_LU ; 4-byte Folded Reload
	v_fma_f64 v[18:19], v[148:149], s[10:11], v[142:143]
	v_fma_f64 v[8:9], v[14:15], s[2:3], v[22:23]
	v_fma_f64 v[10:11], v[144:145], s[10:11], v[146:147]
	v_fma_f64 v[12:13], v[14:15], s[10:11], v[22:23]
	v_fma_f64 v[14:15], v[144:145], s[2:3], v[146:147]
	v_fma_f64 v[122:123], v[156:157], s[10:11], v[159:160]
	v_fma_f64 v[120:121], v[152:153], s[2:3], v[154:155]
	v_fma_f64 v[136:137], v[152:153], s[10:11], v[154:155]
	v_fma_f64 v[138:139], v[156:157], s[2:3], v[159:160]
	v_fma_f64 v[22:23], v[148:149], s[2:3], v[142:143]
	s_wait_loadcnt 0x0
	ds_store_b128 v140, v[0:3]
	ds_store_b128 v140, v[8:11] offset:16
	ds_store_b128 v140, v[12:15] offset:32
	scratch_load_b32 v0, off, off offset:112 th:TH_LOAD_LU ; 4-byte Folded Reload
	s_wait_loadcnt 0x0
	ds_store_b128 v0, v[4:7]
	ds_store_b128 v0, v[16:19] offset:16
	ds_store_b128 v0, v[20:23] offset:32
	s_and_saveexec_b32 s1, vcc_lo
	s_cbranch_execz .LBB0_17
; %bb.16:
	v_add_f64_e32 v[0:1], v[134:135], v[130:131]
	v_add_f64_e32 v[4:5], v[132:133], v[128:129]
	s_delay_alu instid0(VALU_DEP_2) | instskip(NEXT) | instid1(VALU_DEP_2)
	v_add_f64_e32 v[2:3], v[0:1], v[126:127]
	v_add_f64_e32 v[0:1], v[4:5], v[124:125]
	scratch_load_b32 v4, off, off offset:116 th:TH_LOAD_LU ; 4-byte Folded Reload
	s_wait_loadcnt 0x0
	v_lshlrev_b32_e32 v4, 4, v4
	ds_store_b128 v4, v[0:3]
	ds_store_b128 v4, v[120:123] offset:16
	ds_store_b128 v4, v[136:139] offset:32
.LBB0_17:
	s_wait_alu 0xfffe
	s_or_b32 exec_lo, exec_lo, s1
	global_wb scope:SCOPE_SE
	s_wait_dscnt 0x0
	s_barrier_signal -1
	s_barrier_wait -1
	global_inv scope:SCOPE_SE
	ds_load_b128 v[0:3], v255 offset:3696
	ds_load_b128 v[4:7], v255 offset:7392
	;; [unrolled: 1-line block ×6, first 2 shown]
	s_mov_b32 s10, 0x37e14327
	s_mov_b32 s12, 0xe976ee23
	s_mov_b32 s11, 0x3fe948f6
	s_mov_b32 s13, 0x3fe11646
	s_mov_b32 s2, 0x429ad128
	s_mov_b32 s3, 0xbfebfeb5
	s_mov_b32 s14, 0x36b3c0b5
	s_mov_b32 s15, 0x3fac98ee
	s_mov_b32 s16, 0xaaaaaaaa
	s_mov_b32 s22, 0xb247c609
	s_mov_b32 s17, 0xbff2aaaa
	s_mov_b32 s18, 0x5476071b
	s_mov_b32 s23, 0xbfd5d0dc
	s_mov_b32 s19, 0x3fe77f67
	s_wait_dscnt 0x5
	v_mul_f64_e32 v[124:125], v[30:31], v[2:3]
	v_mul_f64_e32 v[30:31], v[30:31], v[0:1]
	s_wait_dscnt 0x4
	v_mul_f64_e32 v[126:127], v[26:27], v[6:7]
	v_mul_f64_e32 v[26:27], v[26:27], v[4:5]
	s_wait_dscnt 0x3
	v_mul_f64_e32 v[128:129], v[34:35], v[10:11]
	v_mul_f64_e32 v[34:35], v[34:35], v[8:9]
	s_wait_dscnt 0x2
	v_mul_f64_e32 v[130:131], v[46:47], v[14:15]
	v_mul_f64_e32 v[46:47], v[46:47], v[12:13]
	s_wait_dscnt 0x1
	v_mul_f64_e32 v[132:133], v[42:43], v[18:19]
	v_mul_f64_e32 v[42:43], v[42:43], v[16:17]
	s_wait_dscnt 0x0
	v_mul_f64_e32 v[134:135], v[38:39], v[22:23]
	v_mul_f64_e32 v[38:39], v[38:39], v[20:21]
	s_mov_b32 s21, 0xbfe77f67
	s_mov_b32 s25, 0x3fd5d0dc
	s_wait_alu 0xfffe
	s_mov_b32 s20, s18
	s_mov_b32 s24, s22
	;; [unrolled: 1-line block ×4, first 2 shown]
	v_fma_f64 v[0:1], v[28:29], v[0:1], v[124:125]
	v_fma_f64 v[2:3], v[28:29], v[2:3], -v[30:31]
	v_fma_f64 v[4:5], v[24:25], v[4:5], v[126:127]
	v_fma_f64 v[6:7], v[24:25], v[6:7], -v[26:27]
	;; [unrolled: 2-line block ×6, first 2 shown]
	v_add_f64_e32 v[24:25], v[0:1], v[8:9]
	v_add_f64_e32 v[26:27], v[2:3], v[10:11]
	;; [unrolled: 1-line block ×4, first 2 shown]
	v_add_f64_e64 v[4:5], v[4:5], -v[12:13]
	v_add_f64_e64 v[6:7], v[6:7], -v[14:15]
	v_add_f64_e32 v[12:13], v[16:17], v[20:21]
	v_add_f64_e32 v[14:15], v[18:19], v[22:23]
	v_add_f64_e64 v[16:17], v[20:21], -v[16:17]
	v_add_f64_e64 v[18:19], v[22:23], -v[18:19]
	;; [unrolled: 1-line block ×4, first 2 shown]
	v_add_f64_e32 v[0:1], v[28:29], v[24:25]
	v_add_f64_e32 v[2:3], v[30:31], v[26:27]
	v_add_f64_e64 v[20:21], v[24:25], -v[12:13]
	v_add_f64_e64 v[22:23], v[26:27], -v[14:15]
	;; [unrolled: 1-line block ×6, first 2 shown]
	v_add_f64_e32 v[4:5], v[16:17], v[4:5]
	v_add_f64_e32 v[6:7], v[18:19], v[6:7]
	v_add_f64_e64 v[16:17], v[8:9], -v[16:17]
	v_add_f64_e64 v[18:19], v[10:11], -v[18:19]
	;; [unrolled: 1-line block ×4, first 2 shown]
	v_add_f64_e32 v[40:41], v[12:13], v[0:1]
	v_add_f64_e32 v[42:43], v[14:15], v[2:3]
	v_add_f64_e64 v[12:13], v[12:13], -v[28:29]
	v_add_f64_e64 v[14:15], v[14:15], -v[30:31]
	ds_load_b128 v[0:3], v255
	v_mul_f64_e32 v[20:21], s[10:11], v[20:21]
	v_mul_f64_e32 v[22:23], s[10:11], v[22:23]
	;; [unrolled: 1-line block ×6, first 2 shown]
	v_add_f64_e32 v[4:5], v[4:5], v[8:9]
	v_add_f64_e32 v[6:7], v[6:7], v[10:11]
	global_wb scope:SCOPE_SE
	s_wait_dscnt 0x0
	s_barrier_signal -1
	s_barrier_wait -1
	global_inv scope:SCOPE_SE
	v_add_f64_e32 v[0:1], v[0:1], v[40:41]
	v_add_f64_e32 v[2:3], v[2:3], v[42:43]
	v_mul_f64_e32 v[28:29], s[14:15], v[12:13]
	v_mul_f64_e32 v[30:31], s[14:15], v[14:15]
	v_fma_f64 v[8:9], v[12:13], s[14:15], v[20:21]
	v_fma_f64 v[10:11], v[14:15], s[14:15], v[22:23]
	v_fma_f64 v[12:13], v[16:17], s[22:23], v[32:33]
	v_fma_f64 v[14:15], v[18:19], s[22:23], v[34:35]
	v_fma_f64 v[32:33], v[36:37], s[2:3], -v[32:33]
	v_fma_f64 v[34:35], v[38:39], s[2:3], -v[34:35]
	s_wait_alu 0xfffe
	v_fma_f64 v[16:17], v[16:17], s[24:25], -v[44:45]
	v_fma_f64 v[18:19], v[18:19], s[24:25], -v[46:47]
	v_fma_f64 v[20:21], v[24:25], s[20:21], -v[20:21]
	v_fma_f64 v[22:23], v[26:27], s[20:21], -v[22:23]
	v_fma_f64 v[36:37], v[40:41], s[16:17], v[0:1]
	v_fma_f64 v[38:39], v[42:43], s[16:17], v[2:3]
	v_fma_f64 v[24:25], v[24:25], s[18:19], -v[28:29]
	v_fma_f64 v[26:27], v[26:27], s[18:19], -v[30:31]
	v_fma_f64 v[28:29], v[4:5], s[26:27], v[12:13]
	v_fma_f64 v[30:31], v[6:7], s[26:27], v[14:15]
	;; [unrolled: 1-line block ×6, first 2 shown]
	v_add_f64_e32 v[44:45], v[8:9], v[36:37]
	v_add_f64_e32 v[46:47], v[10:11], v[38:39]
	;; [unrolled: 1-line block ×7, first 2 shown]
	v_add_f64_e64 v[6:7], v[46:47], -v[28:29]
	v_add_f64_e32 v[8:9], v[42:43], v[20:21]
	v_add_f64_e64 v[10:11], v[22:23], -v[40:41]
	v_add_f64_e64 v[12:13], v[16:17], -v[34:35]
	v_add_f64_e32 v[14:15], v[32:33], v[18:19]
	v_add_f64_e32 v[16:17], v[34:35], v[16:17]
	v_add_f64_e64 v[18:19], v[18:19], -v[32:33]
	v_add_f64_e64 v[20:21], v[20:21], -v[42:43]
	v_add_f64_e32 v[22:23], v[40:41], v[22:23]
	v_add_f64_e64 v[24:25], v[44:45], -v[30:31]
	v_add_f64_e32 v[26:27], v[28:29], v[46:47]
	ds_store_b128 v158, v[0:3]
	ds_store_b128 v158, v[4:7] offset:48
	ds_store_b128 v158, v[8:11] offset:96
	;; [unrolled: 1-line block ×6, first 2 shown]
	global_wb scope:SCOPE_SE
	s_wait_dscnt 0x0
	s_barrier_signal -1
	s_barrier_wait -1
	global_inv scope:SCOPE_SE
	ds_load_b128 v[0:3], v255 offset:3696
	ds_load_b128 v[4:7], v255 offset:7392
	;; [unrolled: 1-line block ×6, first 2 shown]
	s_wait_dscnt 0x5
	v_mul_f64_e32 v[24:25], v[54:55], v[2:3]
	v_mul_f64_e32 v[26:27], v[54:55], v[0:1]
	s_wait_dscnt 0x4
	v_mul_f64_e32 v[28:29], v[50:51], v[6:7]
	v_mul_f64_e32 v[30:31], v[50:51], v[4:5]
	;; [unrolled: 3-line block ×6, first 2 shown]
	v_fma_f64 v[0:1], v[52:53], v[0:1], v[24:25]
	v_fma_f64 v[2:3], v[52:53], v[2:3], -v[26:27]
	v_fma_f64 v[4:5], v[48:49], v[4:5], v[28:29]
	v_fma_f64 v[6:7], v[48:49], v[6:7], -v[30:31]
	;; [unrolled: 2-line block ×6, first 2 shown]
	v_add_f64_e32 v[28:29], v[0:1], v[8:9]
	v_add_f64_e32 v[30:31], v[2:3], v[10:11]
	v_add_f64_e32 v[32:33], v[4:5], v[12:13]
	v_add_f64_e32 v[34:35], v[6:7], v[14:15]
	v_add_f64_e64 v[4:5], v[4:5], -v[12:13]
	v_add_f64_e64 v[6:7], v[6:7], -v[14:15]
	v_add_f64_e32 v[12:13], v[16:17], v[20:21]
	v_add_f64_e32 v[14:15], v[18:19], v[22:23]
	v_add_f64_e64 v[16:17], v[20:21], -v[16:17]
	v_add_f64_e64 v[18:19], v[22:23], -v[18:19]
	;; [unrolled: 1-line block ×4, first 2 shown]
	v_add_f64_e32 v[0:1], v[32:33], v[28:29]
	v_add_f64_e32 v[2:3], v[34:35], v[30:31]
	v_add_f64_e64 v[20:21], v[28:29], -v[12:13]
	v_add_f64_e64 v[22:23], v[30:31], -v[14:15]
	;; [unrolled: 1-line block ×6, first 2 shown]
	v_add_f64_e32 v[4:5], v[16:17], v[4:5]
	v_add_f64_e32 v[6:7], v[18:19], v[6:7]
	v_add_f64_e64 v[16:17], v[8:9], -v[16:17]
	v_add_f64_e64 v[18:19], v[10:11], -v[18:19]
	v_add_f64_e32 v[40:41], v[12:13], v[0:1]
	v_add_f64_e32 v[42:43], v[14:15], v[2:3]
	v_add_f64_e64 v[12:13], v[12:13], -v[32:33]
	v_add_f64_e64 v[14:15], v[14:15], -v[34:35]
	ds_load_b128 v[0:3], v255
	v_mul_f64_e32 v[20:21], s[10:11], v[20:21]
	v_mul_f64_e32 v[22:23], s[10:11], v[22:23]
	;; [unrolled: 1-line block ×6, first 2 shown]
	v_add_f64_e32 v[4:5], v[4:5], v[8:9]
	v_add_f64_e32 v[6:7], v[6:7], v[10:11]
	global_wb scope:SCOPE_SE
	s_wait_dscnt 0x0
	s_barrier_signal -1
	s_barrier_wait -1
	global_inv scope:SCOPE_SE
	v_add_f64_e32 v[24:25], v[0:1], v[40:41]
	v_add_f64_e32 v[26:27], v[2:3], v[42:43]
	v_add_f64_e64 v[0:1], v[32:33], -v[28:29]
	v_add_f64_e64 v[2:3], v[34:35], -v[30:31]
	v_mul_f64_e32 v[28:29], s[14:15], v[12:13]
	v_mul_f64_e32 v[30:31], s[14:15], v[14:15]
	v_fma_f64 v[8:9], v[12:13], s[14:15], v[20:21]
	v_fma_f64 v[10:11], v[14:15], s[14:15], v[22:23]
	;; [unrolled: 1-line block ×4, first 2 shown]
	v_fma_f64 v[32:33], v[36:37], s[2:3], -v[44:45]
	v_fma_f64 v[34:35], v[38:39], s[2:3], -v[46:47]
	;; [unrolled: 1-line block ×4, first 2 shown]
	v_fma_f64 v[36:37], v[40:41], s[16:17], v[24:25]
	v_fma_f64 v[38:39], v[42:43], s[16:17], v[26:27]
	v_fma_f64 v[20:21], v[0:1], s[20:21], -v[20:21]
	v_fma_f64 v[22:23], v[2:3], s[20:21], -v[22:23]
	;; [unrolled: 1-line block ×4, first 2 shown]
	v_fma_f64 v[12:13], v[4:5], s[26:27], v[12:13]
	v_fma_f64 v[14:15], v[6:7], s[26:27], v[14:15]
	;; [unrolled: 1-line block ×6, first 2 shown]
	v_add_f64_e32 v[8:9], v[8:9], v[36:37]
	v_add_f64_e32 v[10:11], v[10:11], v[38:39]
	;; [unrolled: 1-line block ×7, first 2 shown]
	v_add_f64_e64 v[30:31], v[10:11], -v[12:13]
	v_add_f64_e32 v[32:33], v[6:7], v[16:17]
	v_add_f64_e64 v[34:35], v[18:19], -v[4:5]
	v_add_f64_e64 v[36:37], v[0:1], -v[40:41]
	v_add_f64_e32 v[38:39], v[42:43], v[2:3]
	v_add_f64_e32 v[40:41], v[40:41], v[0:1]
	v_add_f64_e64 v[42:43], v[2:3], -v[42:43]
	v_add_f64_e64 v[44:45], v[16:17], -v[6:7]
	v_add_f64_e32 v[46:47], v[4:5], v[18:19]
	v_add_f64_e64 v[48:49], v[8:9], -v[14:15]
	v_add_f64_e32 v[50:51], v[12:13], v[10:11]
	ds_store_b128 v183, v[24:27]
	ds_store_b128 v183, v[28:31] offset:336
	ds_store_b128 v183, v[32:35] offset:672
	;; [unrolled: 1-line block ×6, first 2 shown]
	global_wb scope:SCOPE_SE
	s_wait_dscnt 0x0
	s_barrier_signal -1
	s_barrier_wait -1
	global_inv scope:SCOPE_SE
	s_and_saveexec_b32 s1, s0
	s_cbranch_execz .LBB0_19
; %bb.18:
	ds_load_b128 v[24:27], v255
	ds_load_b128 v[28:31], v255 offset:2352
	ds_load_b128 v[32:35], v255 offset:4704
	;; [unrolled: 1-line block ×10, first 2 shown]
.LBB0_19:
	s_wait_alu 0xfffe
	s_or_b32 exec_lo, exec_lo, s1
	s_and_saveexec_b32 s16, s0
	s_cbranch_execz .LBB0_21
; %bb.20:
	s_wait_dscnt 0x9
	v_mul_f64_e32 v[0:1], v[58:59], v[28:29]
	v_mul_f64_e32 v[2:3], v[58:59], v[30:31]
	s_wait_dscnt 0x5
	v_mul_f64_e32 v[4:5], v[106:107], v[46:47]
	v_mul_f64_e32 v[8:9], v[106:107], v[44:45]
	;; [unrolled: 1-line block ×3, first 2 shown]
	s_wait_dscnt 0x3
	v_mul_f64_e32 v[14:15], v[102:103], v[122:123]
	v_mul_f64_e32 v[16:17], v[98:99], v[40:41]
	;; [unrolled: 1-line block ×4, first 2 shown]
	s_wait_dscnt 0x2
	v_mul_f64_e32 v[22:23], v[94:95], v[138:139]
	v_mul_f64_e32 v[52:53], v[78:79], v[34:35]
	;; [unrolled: 1-line block ×3, first 2 shown]
	s_wait_dscnt 0x0
	v_mul_f64_e32 v[58:59], v[82:83], v[114:115]
	v_mul_f64_e32 v[68:69], v[82:83], v[112:113]
	;; [unrolled: 1-line block ×8, first 2 shown]
	s_mov_b32 s22, 0xbb3a28a1
	s_mov_b32 s26, 0xfd768dbf
	;; [unrolled: 1-line block ×11, first 2 shown]
	s_wait_alu 0xfffe
	s_mov_b32 s28, s24
	s_mov_b32 s10, 0x7f775887
	;; [unrolled: 1-line block ×7, first 2 shown]
	v_fma_f64 v[0:1], v[56:57], v[30:31], -v[0:1]
	v_fma_f64 v[2:3], v[56:57], v[28:29], v[2:3]
	v_fma_f64 v[4:5], v[104:105], v[44:45], v[4:5]
	v_fma_f64 v[8:9], v[104:105], v[46:47], -v[8:9]
	v_fma_f64 v[12:13], v[96:97], v[40:41], v[12:13]
	v_fma_f64 v[40:41], v[100:101], v[120:121], v[14:15]
	v_fma_f64 v[14:15], v[96:97], v[42:43], -v[16:17]
	v_fma_f64 v[42:43], v[100:101], v[122:123], -v[18:19]
	v_fma_f64 v[16:17], v[88:89], v[36:37], v[20:21]
	v_fma_f64 v[36:37], v[92:93], v[136:137], v[22:23]
	;; [unrolled: 1-line block ×3, first 2 shown]
	v_fma_f64 v[22:23], v[76:77], v[34:35], -v[64:65]
	v_fma_f64 v[28:29], v[80:81], v[112:113], v[58:59]
	v_fma_f64 v[30:31], v[80:81], v[114:115], -v[68:69]
	v_fma_f64 v[6:7], v[108:109], v[48:49], v[6:7]
	v_fma_f64 v[10:11], v[108:109], v[50:51], -v[10:11]
	v_fma_f64 v[20:21], v[88:89], v[38:39], -v[60:61]
	;; [unrolled: 1-line block ×3, first 2 shown]
	v_fma_f64 v[32:33], v[84:85], v[116:117], v[54:55]
	v_fma_f64 v[34:35], v[84:85], v[118:119], -v[66:67]
	s_mov_b32 s30, s18
	s_mov_b32 s34, s26
	;; [unrolled: 1-line block ×8, first 2 shown]
	v_mov_b32_e32 v200, v184
	v_add_f64_e32 v[44:45], v[26:27], v[0:1]
	v_add_f64_e32 v[46:47], v[24:25], v[2:3]
	v_add_f64_e64 v[50:51], v[12:13], -v[40:41]
	v_add_f64_e32 v[76:77], v[12:13], v[40:41]
	v_add_f64_e64 v[60:61], v[14:15], -v[42:43]
	;; [unrolled: 2-line block ×4, first 2 shown]
	v_add_f64_e64 v[66:67], v[0:1], -v[30:31]
	v_add_f64_e64 v[48:49], v[4:5], -v[6:7]
	;; [unrolled: 1-line block ×3, first 2 shown]
	v_add_f64_e32 v[0:1], v[0:1], v[30:31]
	v_add_f64_e64 v[62:63], v[20:21], -v[38:39]
	v_add_f64_e32 v[72:73], v[20:21], v[38:39]
	v_add_f64_e64 v[54:55], v[18:19], -v[32:33]
	v_add_f64_e64 v[64:65], v[22:23], -v[34:35]
	v_add_f64_e32 v[2:3], v[2:3], v[28:29]
	v_add_f64_e32 v[68:69], v[8:9], v[10:11]
	v_add_f64_e32 v[74:75], v[4:5], v[6:7]
	v_add_f64_e32 v[44:45], v[44:45], v[22:23]
	v_add_f64_e32 v[46:47], v[46:47], v[18:19]
	v_add_f64_e32 v[22:23], v[22:23], v[34:35]
	v_add_f64_e32 v[18:19], v[18:19], v[32:33]
	v_mul_f64_e32 v[82:83], s[20:21], v[50:51]
	v_mul_f64_e32 v[102:103], s[26:27], v[50:51]
	;; [unrolled: 1-line block ×5, first 2 shown]
	s_wait_alu 0xfffe
	v_mul_f64_e32 v[104:105], s[28:29], v[52:53]
	v_mul_f64_e32 v[84:85], s[22:23], v[52:53]
	;; [unrolled: 1-line block ×8, first 2 shown]
	s_mov_b32 s21, 0xbfed1bb4
	v_mul_f64_e32 v[124:125], s[18:19], v[56:57]
	v_mul_f64_e32 v[134:135], s[18:19], v[66:67]
	;; [unrolled: 1-line block ×3, first 2 shown]
	s_wait_alu 0xfffe
	v_mul_f64_e32 v[154:155], s[20:21], v[66:67]
	v_mul_f64_e32 v[66:67], s[28:29], v[66:67]
	;; [unrolled: 1-line block ×16, first 2 shown]
	v_add_f64_e32 v[20:21], v[44:45], v[20:21]
	v_add_f64_e32 v[16:17], v[46:47], v[16:17]
	v_mul_f64_e32 v[46:47], s[22:23], v[56:57]
	v_mul_f64_e32 v[56:57], s[20:21], v[56:57]
	;; [unrolled: 1-line block ×9, first 2 shown]
	v_fma_f64 v[156:157], v[72:73], s[10:11], v[84:85]
	v_fma_f64 v[160:161], v[0:1], s[2:3], v[88:89]
	v_fma_f64 v[170:171], v[2:3], s[2:3], -v[98:99]
	v_fma_f64 v[174:175], v[2:3], s[10:11], -v[114:115]
	v_fma_f64 v[114:115], v[2:3], s[10:11], v[114:115]
	v_fma_f64 v[88:89], v[0:1], s[2:3], -v[88:89]
	v_fma_f64 v[98:99], v[2:3], s[2:3], v[98:99]
	;; [unrolled: 2-line block ×3, first 2 shown]
	v_fma_f64 v[178:179], v[2:3], s[14:15], -v[134:135]
	v_fma_f64 v[124:125], v[0:1], s[14:15], -v[124:125]
	v_fma_f64 v[180:181], v[0:1], s[12:13], v[152:153]
	v_fma_f64 v[152:153], v[0:1], s[12:13], -v[152:153]
	v_fma_f64 v[184:185], v[2:3], s[0:1], v[154:155]
	v_fma_f64 v[134:135], v[2:3], s[14:15], v[134:135]
	;; [unrolled: 1-line block ×3, first 2 shown]
	v_fma_f64 v[168:169], v[18:19], s[12:13], -v[96:97]
	v_fma_f64 v[86:87], v[22:23], s[12:13], -v[86:87]
	v_fma_f64 v[96:97], v[18:19], s[12:13], v[96:97]
	v_fma_f64 v[186:187], v[18:19], s[2:3], -v[132:133]
	v_fma_f64 v[132:133], v[18:19], s[2:3], v[132:133]
	v_fma_f64 v[188:189], v[22:23], s[10:11], v[142:143]
	v_fma_f64 v[190:191], v[18:19], s[10:11], -v[150:151]
	v_fma_f64 v[142:143], v[22:23], s[10:11], -v[142:143]
	v_fma_f64 v[150:151], v[18:19], s[10:11], v[150:151]
	v_fma_f64 v[166:167], v[78:79], s[10:11], -v[94:95]
	v_fma_f64 v[94:95], v[78:79], s[10:11], v[94:95]
	v_add_f64_e32 v[14:15], v[20:21], v[14:15]
	v_add_f64_e32 v[12:13], v[16:17], v[12:13]
	v_mul_f64_e32 v[16:17], s[20:21], v[54:55]
	v_mul_f64_e32 v[20:21], s[20:21], v[64:65]
	v_fma_f64 v[172:173], v[0:1], s[10:11], v[46:47]
	v_fma_f64 v[46:47], v[0:1], s[10:11], -v[46:47]
	v_fma_f64 v[182:183], v[0:1], s[0:1], -v[56:57]
	v_fma_f64 v[0:1], v[0:1], s[0:1], v[56:57]
	v_fma_f64 v[56:57], v[2:3], s[0:1], -v[154:155]
	v_fma_f64 v[154:155], v[22:23], s[2:3], v[122:123]
	;; [unrolled: 2-line block ×3, first 2 shown]
	v_fma_f64 v[198:199], v[78:79], s[14:15], -v[62:63]
	v_fma_f64 v[52:53], v[72:73], s[14:15], -v[52:53]
	v_fma_f64 v[62:63], v[78:79], s[14:15], v[62:63]
	v_add_f64_e32 v[114:115], v[24:25], v[114:115]
	v_add_f64_e32 v[88:89], v[26:27], v[88:89]
	;; [unrolled: 1-line block ×3, first 2 shown]
	v_mul_f64_e32 v[90:91], s[18:19], v[58:59]
	v_mul_f64_e32 v[116:117], s[22:23], v[48:49]
	;; [unrolled: 1-line block ×3, first 2 shown]
	v_add_f64_e32 v[124:125], v[26:27], v[124:125]
	v_mul_f64_e32 v[48:49], s[26:27], v[48:49]
	v_add_f64_e32 v[152:153], v[26:27], v[152:153]
	v_fma_f64 v[64:65], v[70:71], s[0:1], v[82:83]
	v_add_f64_e32 v[134:135], v[24:25], v[134:135]
	v_fma_f64 v[164:165], v[76:77], s[0:1], -v[92:93]
	v_fma_f64 v[82:83], v[70:71], s[0:1], -v[82:83]
	v_fma_f64 v[92:93], v[76:77], s[0:1], v[92:93]
	v_mul_f64_e32 v[144:145], s[24:25], v[58:59]
	v_mul_f64_e32 v[126:127], s[22:23], v[58:59]
	;; [unrolled: 1-line block ×3, first 2 shown]
	v_fma_f64 v[54:55], v[68:69], s[14:15], v[80:81]
	v_fma_f64 v[80:81], v[68:69], s[14:15], -v[80:81]
	v_add_f64_e32 v[8:9], v[14:15], v[8:9]
	v_add_f64_e32 v[4:5], v[12:13], v[4:5]
	v_fma_f64 v[12:13], v[2:3], s[12:13], v[66:67]
	v_fma_f64 v[2:3], v[2:3], s[12:13], -v[66:67]
	v_fma_f64 v[14:15], v[22:23], s[14:15], v[44:45]
	v_fma_f64 v[66:67], v[18:19], s[14:15], -v[112:113]
	v_fma_f64 v[44:45], v[22:23], s[14:15], -v[44:45]
	v_fma_f64 v[112:113], v[18:19], s[14:15], v[112:113]
	v_fma_f64 v[192:193], v[22:23], s[0:1], v[16:17]
	v_fma_f64 v[194:195], v[18:19], s[0:1], -v[20:21]
	v_fma_f64 v[16:17], v[22:23], s[0:1], -v[16:17]
	v_fma_f64 v[18:19], v[18:19], s[0:1], v[20:21]
	v_add_f64_e32 v[20:21], v[26:27], v[160:161]
	v_add_f64_e32 v[22:23], v[24:25], v[170:171]
	;; [unrolled: 1-line block ×12, first 2 shown]
	v_fma_f64 v[56:57], v[78:79], s[12:13], v[110:111]
	v_fma_f64 v[182:183], v[72:73], s[2:3], v[140:141]
	v_fma_f64 v[184:185], v[78:79], s[2:3], -v[148:149]
	v_fma_f64 v[140:141], v[72:73], s[2:3], -v[140:141]
	v_fma_f64 v[148:149], v[78:79], s[2:3], v[148:149]
	v_fma_f64 v[162:163], v[74:75], s[14:15], -v[90:91]
	v_fma_f64 v[90:91], v[74:75], s[14:15], v[90:91]
	v_add_f64_e32 v[8:9], v[8:9], v[10:11]
	v_add_f64_e32 v[4:5], v[4:5], v[6:7]
	;; [unrolled: 1-line block ×4, first 2 shown]
	v_fma_f64 v[10:11], v[72:73], s[12:13], v[104:105]
	v_fma_f64 v[12:13], v[78:79], s[12:13], -v[110:111]
	v_fma_f64 v[24:25], v[72:73], s[12:13], -v[104:105]
	v_fma_f64 v[104:105], v[72:73], s[0:1], v[120:121]
	v_fma_f64 v[110:111], v[78:79], s[0:1], -v[130:131]
	v_fma_f64 v[120:121], v[72:73], s[0:1], -v[120:121]
	v_fma_f64 v[130:131], v[78:79], s[0:1], v[130:131]
	v_add_f64_e32 v[72:73], v[86:87], v[88:89]
	v_add_f64_e32 v[20:21], v[158:159], v[20:21]
	v_add_f64_e32 v[78:79], v[96:97], v[98:99]
	v_add_f64_e32 v[14:15], v[14:15], v[160:161]
	v_add_f64_e32 v[66:67], v[66:67], v[170:171]
	v_add_f64_e32 v[44:45], v[44:45], v[46:47]
	v_add_f64_e32 v[46:47], v[112:113], v[114:115]
	v_add_f64_e32 v[22:23], v[168:169], v[22:23]
	v_add_f64_e32 v[96:97], v[122:123], v[124:125]
	v_add_f64_e32 v[16:17], v[16:17], v[152:153]
	v_add_f64_e32 v[114:115], v[142:143], v[178:179]
	v_add_f64_e32 v[122:123], v[150:151], v[180:181]
	v_add_f64_e32 v[86:87], v[154:155], v[172:173]
	v_add_f64_e32 v[98:99], v[132:133], v[134:135]
	v_add_f64_e32 v[88:89], v[186:187], v[174:175]
	v_add_f64_e32 v[0:1], v[188:189], v[0:1]
	v_add_f64_e32 v[26:27], v[190:191], v[26:27]
	v_add_f64_e32 v[112:113], v[192:193], v[176:177]
	v_fma_f64 v[132:133], v[70:71], s[14:15], v[138:139]
	v_fma_f64 v[134:135], v[76:77], s[14:15], -v[146:147]
	v_fma_f64 v[138:139], v[70:71], s[14:15], -v[138:139]
	v_fma_f64 v[142:143], v[76:77], s[14:15], v[146:147]
	v_fma_f64 v[146:147], v[70:71], s[10:11], v[50:51]
	v_fma_f64 v[50:51], v[70:71], s[10:11], -v[50:51]
	v_fma_f64 v[124:125], v[76:77], s[12:13], -v[128:129]
	v_fma_f64 v[128:129], v[76:77], s[12:13], v[128:129]
	v_fma_f64 v[150:151], v[76:77], s[10:11], -v[60:61]
	v_add_f64_e32 v[8:9], v[8:9], v[42:43]
	v_add_f64_e32 v[4:5], v[4:5], v[40:41]
	;; [unrolled: 1-line block ×4, first 2 shown]
	v_fma_f64 v[18:19], v[70:71], s[2:3], v[102:103]
	v_fma_f64 v[40:41], v[76:77], s[2:3], -v[108:109]
	v_fma_f64 v[42:43], v[70:71], s[2:3], -v[102:103]
	v_fma_f64 v[102:103], v[76:77], s[2:3], v[108:109]
	v_fma_f64 v[108:109], v[70:71], s[12:13], v[118:119]
	v_fma_f64 v[118:119], v[70:71], s[12:13], -v[118:119]
	v_fma_f64 v[60:61], v[76:77], s[10:11], v[60:61]
	v_add_f64_e32 v[70:71], v[84:85], v[72:73]
	v_add_f64_e32 v[20:21], v[156:157], v[20:21]
	;; [unrolled: 1-line block ×18, first 2 shown]
	v_fma_f64 v[84:85], v[74:75], s[0:1], v[106:107]
	v_fma_f64 v[86:87], v[68:69], s[10:11], v[116:117]
	v_fma_f64 v[94:95], v[68:69], s[10:11], -v[116:117]
	v_fma_f64 v[98:99], v[68:69], s[12:13], v[136:137]
	v_fma_f64 v[104:105], v[68:69], s[12:13], -v[136:137]
	;; [unrolled: 2-line block ×4, first 2 shown]
	v_add_f64_e32 v[8:9], v[8:9], v[38:39]
	v_add_f64_e32 v[4:5], v[4:5], v[36:37]
	;; [unrolled: 1-line block ×4, first 2 shown]
	v_fma_f64 v[38:39], v[74:75], s[0:1], -v[106:107]
	v_fma_f64 v[62:63], v[68:69], s[0:1], -v[100:101]
	v_fma_f64 v[36:37], v[68:69], s[0:1], v[100:101]
	v_fma_f64 v[106:107], v[74:75], s[12:13], v[144:145]
	v_fma_f64 v[100:101], v[74:75], s[12:13], -v[144:145]
	v_fma_f64 v[112:113], v[74:75], s[2:3], -v[58:59]
	v_fma_f64 v[58:59], v[74:75], s[2:3], v[58:59]
	v_mov_b32_e32 v184, v200
	v_add_f64_e32 v[20:21], v[64:65], v[20:21]
	v_add_f64_e32 v[64:65], v[82:83], v[70:71]
	;; [unrolled: 1-line block ×44, first 2 shown]
	ds_store_b128 v255, v[12:15] offset:9408
	ds_store_b128 v255, v[4:7] offset:11760
	;; [unrolled: 1-line block ×8, first 2 shown]
	ds_store_b128 v255, v[42:45]
	ds_store_b128 v255, v[30:33] offset:2352
	ds_store_b128 v255, v[24:27] offset:23520
.LBB0_21:
	s_wait_alu 0xfffe
	s_or_b32 exec_lo, exec_lo, s16
	global_wb scope:SCOPE_SE
	s_wait_dscnt 0x0
	s_barrier_signal -1
	s_barrier_wait -1
	global_inv scope:SCOPE_SE
	ds_load_b128 v[0:3], v255
	ds_load_b128 v[4:7], v255 offset:8624
	ds_load_b128 v[8:11], v255 offset:17248
	;; [unrolled: 1-line block ×5, first 2 shown]
	s_clause 0x2
	scratch_load_b128 v[57:60], off, off offset:48 th:TH_LOAD_LU
	scratch_load_b128 v[51:54], off, off offset:16 th:TH_LOAD_LU
	scratch_load_b64 v[48:49], off, off offset:8 th:TH_LOAD_LU
	s_mov_b32 s2, 0x929a339d
	s_mov_b32 s3, 0x3f4443c2
	s_wait_loadcnt_dscnt 0x104
	v_mul_f64_e32 v[28:29], v[53:54], v[6:7]
	v_mul_f64_e32 v[30:31], v[53:54], v[4:5]
	scratch_load_b128 v[53:56], off, off offset:32 th:TH_LOAD_LU ; 16-byte Folded Reload
	v_mul_f64_e32 v[24:25], v[59:60], v[2:3]
	v_mul_f64_e32 v[26:27], v[59:60], v[0:1]
	scratch_load_b128 v[59:62], off, off offset:64 th:TH_LOAD_LU ; 16-byte Folded Reload
	s_wait_loadcnt 0x2
	v_mov_b32_e32 v50, v48
	s_delay_alu instid0(VALU_DEP_1)
	v_mad_co_u64_u32 v[48:49], null, s6, v50, 0
	v_fma_f64 v[0:1], v[57:58], v[0:1], v[24:25]
	v_fma_f64 v[24:25], v[57:58], v[2:3], -v[26:27]
	v_fma_f64 v[26:27], v[51:52], v[4:5], v[28:29]
	v_fma_f64 v[28:29], v[51:52], v[6:7], -v[30:31]
	v_mov_b32_e32 v4, v49
	v_mad_co_u64_u32 v[2:3], null, s4, v184, 0
	s_delay_alu instid0(VALU_DEP_2) | instskip(SKIP_3) | instid1(VALU_DEP_1)
	v_mad_co_u64_u32 v[4:5], null, s7, v50, v[4:5]
	s_mul_u64 s[6:7], s[4:5], 0x21b
	s_wait_alu 0xfffe
	s_lshl_b64 s[6:7], s[6:7], 4
	v_mad_co_u64_u32 v[5:6], null, s5, v184, v[3:4]
	v_mov_b32_e32 v49, v4
	s_delay_alu instid0(VALU_DEP_2)
	v_mov_b32_e32 v3, v5
	v_mul_f64_e32 v[4:5], s[2:3], v[24:25]
	v_mul_f64_e32 v[6:7], s[2:3], v[26:27]
	s_wait_loadcnt_dscnt 0x103
	v_mul_f64_e32 v[32:33], v[55:56], v[10:11]
	v_mul_f64_e32 v[34:35], v[55:56], v[8:9]
	s_wait_loadcnt_dscnt 0x2
	v_mul_f64_e32 v[36:37], v[61:62], v[14:15]
	v_mul_f64_e32 v[38:39], v[61:62], v[12:13]
	scratch_load_b128 v[61:64], off, off offset:80 th:TH_LOAD_LU ; 16-byte Folded Reload
	v_fma_f64 v[30:31], v[53:54], v[8:9], v[32:33]
	v_fma_f64 v[32:33], v[53:54], v[10:11], -v[34:35]
	v_mul_f64_e32 v[8:9], s[2:3], v[28:29]
	v_fma_f64 v[34:35], v[59:60], v[12:13], v[36:37]
	v_fma_f64 v[36:37], v[59:60], v[14:15], -v[38:39]
	v_mul_f64_e32 v[10:11], s[2:3], v[30:31]
	v_mul_f64_e32 v[12:13], s[2:3], v[32:33]
	s_delay_alu instid0(VALU_DEP_4)
	v_mul_f64_e32 v[14:15], s[2:3], v[34:35]
	s_wait_loadcnt_dscnt 0x1
	v_mul_f64_e32 v[40:41], v[63:64], v[18:19]
	v_mul_f64_e32 v[42:43], v[63:64], v[16:17]
	scratch_load_b128 v[63:66], off, off offset:96 th:TH_LOAD_LU ; 16-byte Folded Reload
	v_fma_f64 v[38:39], v[61:62], v[16:17], v[40:41]
	v_fma_f64 v[40:41], v[61:62], v[18:19], -v[42:43]
	v_mul_f64_e32 v[16:17], s[2:3], v[36:37]
	s_delay_alu instid0(VALU_DEP_3) | instskip(SKIP_3) | instid1(VALU_DEP_2)
	v_mul_f64_e32 v[18:19], s[2:3], v[38:39]
	s_wait_loadcnt_dscnt 0x0
	v_mul_f64_e32 v[44:45], v[65:66], v[22:23]
	v_mul_f64_e32 v[46:47], v[65:66], v[20:21]
	v_fma_f64 v[42:43], v[63:64], v[20:21], v[44:45]
	s_delay_alu instid0(VALU_DEP_2) | instskip(SKIP_4) | instid1(VALU_DEP_4)
	v_fma_f64 v[44:45], v[63:64], v[22:23], -v[46:47]
	v_lshlrev_b64_e32 v[46:47], 4, v[48:49]
	v_lshlrev_b64_e32 v[48:49], 4, v[2:3]
	v_mul_f64_e32 v[2:3], s[2:3], v[0:1]
	v_mul_f64_e32 v[20:21], s[2:3], v[40:41]
	v_add_co_u32 v0, s0, s8, v46
	s_wait_alu 0xf1ff
	v_add_co_ci_u32_e64 v1, s0, s9, v47, s0
	s_movk_i32 s8, 0xfcb1
	s_delay_alu instid0(VALU_DEP_2) | instskip(SKIP_1) | instid1(VALU_DEP_2)
	v_add_co_u32 v26, s0, v0, v48
	s_wait_alu 0xf1ff
	v_add_co_ci_u32_e64 v27, s0, v1, v49, s0
	s_mov_b32 s9, -1
	s_wait_alu 0xfffe
	v_add_co_u32 v28, s0, v26, s6
	s_wait_alu 0xf1ff
	v_add_co_ci_u32_e64 v29, s0, s7, v27, s0
	s_mul_u64 s[4:5], s[4:5], s[8:9]
	s_delay_alu instid0(VALU_DEP_2) | instskip(SKIP_1) | instid1(VALU_DEP_2)
	v_add_co_u32 v30, s0, v28, s6
	s_wait_alu 0xf1ff
	v_add_co_ci_u32_e64 v31, s0, s7, v29, s0
	s_wait_alu 0xfffe
	s_lshl_b64 s[4:5], s[4:5], 4
	s_wait_alu 0xfffe
	v_add_co_u32 v32, s0, v30, s4
	s_wait_alu 0xf1ff
	v_add_co_ci_u32_e64 v33, s0, s5, v31, s0
	s_delay_alu instid0(VALU_DEP_2) | instskip(SKIP_1) | instid1(VALU_DEP_2)
	v_add_co_u32 v34, s0, v32, s6
	s_wait_alu 0xf1ff
	v_add_co_ci_u32_e64 v35, s0, s7, v33, s0
	v_mul_f64_e32 v[22:23], s[2:3], v[42:43]
	v_mul_f64_e32 v[24:25], s[2:3], v[44:45]
	v_add_co_u32 v0, s0, v34, s6
	s_wait_alu 0xf1ff
	v_add_co_ci_u32_e64 v1, s0, s7, v35, s0
	s_clause 0x4
	global_store_b128 v[26:27], v[2:5], off
	global_store_b128 v[28:29], v[6:9], off
	;; [unrolled: 1-line block ×6, first 2 shown]
	s_and_b32 exec_lo, exec_lo, vcc_lo
	s_cbranch_execz .LBB0_23
; %bb.22:
	scratch_load_b64 v[10:11], off, off th:TH_LOAD_LU ; 8-byte Folded Reload
	v_add_co_u32 v0, vcc_lo, v0, s4
	s_wait_alu 0xfffd
	v_add_co_ci_u32_e32 v1, vcc_lo, s5, v1, vcc_lo
	s_wait_loadcnt 0x0
	s_clause 0x2
	global_load_b128 v[2:5], v[10:11], off offset:7392
	global_load_b128 v[6:9], v[10:11], off offset:16016
	;; [unrolled: 1-line block ×3, first 2 shown]
	ds_load_b128 v[14:17], v255 offset:7392
	ds_load_b128 v[18:21], v255 offset:16016
	;; [unrolled: 1-line block ×3, first 2 shown]
	s_wait_loadcnt_dscnt 0x202
	v_mul_f64_e32 v[26:27], v[16:17], v[4:5]
	v_mul_f64_e32 v[4:5], v[14:15], v[4:5]
	s_wait_loadcnt_dscnt 0x101
	v_mul_f64_e32 v[28:29], v[20:21], v[8:9]
	v_mul_f64_e32 v[8:9], v[18:19], v[8:9]
	;; [unrolled: 3-line block ×3, first 2 shown]
	v_fma_f64 v[14:15], v[14:15], v[2:3], v[26:27]
	v_fma_f64 v[4:5], v[2:3], v[16:17], -v[4:5]
	v_fma_f64 v[16:17], v[18:19], v[6:7], v[28:29]
	v_fma_f64 v[8:9], v[6:7], v[20:21], -v[8:9]
	;; [unrolled: 2-line block ×3, first 2 shown]
	v_mul_f64_e32 v[2:3], s[2:3], v[14:15]
	v_mul_f64_e32 v[4:5], s[2:3], v[4:5]
	;; [unrolled: 1-line block ×6, first 2 shown]
	v_add_co_u32 v14, vcc_lo, v0, s6
	s_wait_alu 0xfffd
	v_add_co_ci_u32_e32 v15, vcc_lo, s7, v1, vcc_lo
	s_delay_alu instid0(VALU_DEP_2) | instskip(SKIP_1) | instid1(VALU_DEP_2)
	v_add_co_u32 v16, vcc_lo, v14, s6
	s_wait_alu 0xfffd
	v_add_co_ci_u32_e32 v17, vcc_lo, s7, v15, vcc_lo
	global_store_b128 v[0:1], v[2:5], off
	global_store_b128 v[14:15], v[6:9], off
	;; [unrolled: 1-line block ×3, first 2 shown]
.LBB0_23:
	s_nop 0
	s_sendmsg sendmsg(MSG_DEALLOC_VGPRS)
	s_endpgm
	.section	.rodata,"a",@progbits
	.p2align	6, 0x0
	.amdhsa_kernel bluestein_single_back_len1617_dim1_dp_op_CI_CI
		.amdhsa_group_segment_fixed_size 25872
		.amdhsa_private_segment_fixed_size 240
		.amdhsa_kernarg_size 104
		.amdhsa_user_sgpr_count 2
		.amdhsa_user_sgpr_dispatch_ptr 0
		.amdhsa_user_sgpr_queue_ptr 0
		.amdhsa_user_sgpr_kernarg_segment_ptr 1
		.amdhsa_user_sgpr_dispatch_id 0
		.amdhsa_user_sgpr_private_segment_size 0
		.amdhsa_wavefront_size32 1
		.amdhsa_uses_dynamic_stack 0
		.amdhsa_enable_private_segment 1
		.amdhsa_system_sgpr_workgroup_id_x 1
		.amdhsa_system_sgpr_workgroup_id_y 0
		.amdhsa_system_sgpr_workgroup_id_z 0
		.amdhsa_system_sgpr_workgroup_info 0
		.amdhsa_system_vgpr_workitem_id 0
		.amdhsa_next_free_vgpr 256
		.amdhsa_next_free_sgpr 38
		.amdhsa_reserve_vcc 1
		.amdhsa_float_round_mode_32 0
		.amdhsa_float_round_mode_16_64 0
		.amdhsa_float_denorm_mode_32 3
		.amdhsa_float_denorm_mode_16_64 3
		.amdhsa_fp16_overflow 0
		.amdhsa_workgroup_processor_mode 1
		.amdhsa_memory_ordered 1
		.amdhsa_forward_progress 0
		.amdhsa_round_robin_scheduling 0
		.amdhsa_exception_fp_ieee_invalid_op 0
		.amdhsa_exception_fp_denorm_src 0
		.amdhsa_exception_fp_ieee_div_zero 0
		.amdhsa_exception_fp_ieee_overflow 0
		.amdhsa_exception_fp_ieee_underflow 0
		.amdhsa_exception_fp_ieee_inexact 0
		.amdhsa_exception_int_div_zero 0
	.end_amdhsa_kernel
	.text
.Lfunc_end0:
	.size	bluestein_single_back_len1617_dim1_dp_op_CI_CI, .Lfunc_end0-bluestein_single_back_len1617_dim1_dp_op_CI_CI
                                        ; -- End function
	.section	.AMDGPU.csdata,"",@progbits
; Kernel info:
; codeLenInByte = 13896
; NumSgprs: 40
; NumVgprs: 256
; ScratchSize: 240
; MemoryBound: 0
; FloatMode: 240
; IeeeMode: 1
; LDSByteSize: 25872 bytes/workgroup (compile time only)
; SGPRBlocks: 4
; VGPRBlocks: 31
; NumSGPRsForWavesPerEU: 40
; NumVGPRsForWavesPerEU: 256
; Occupancy: 5
; WaveLimiterHint : 1
; COMPUTE_PGM_RSRC2:SCRATCH_EN: 1
; COMPUTE_PGM_RSRC2:USER_SGPR: 2
; COMPUTE_PGM_RSRC2:TRAP_HANDLER: 0
; COMPUTE_PGM_RSRC2:TGID_X_EN: 1
; COMPUTE_PGM_RSRC2:TGID_Y_EN: 0
; COMPUTE_PGM_RSRC2:TGID_Z_EN: 0
; COMPUTE_PGM_RSRC2:TIDIG_COMP_CNT: 0
	.text
	.p2alignl 7, 3214868480
	.fill 96, 4, 3214868480
	.type	__hip_cuid_a6e53ed36b727b29,@object ; @__hip_cuid_a6e53ed36b727b29
	.section	.bss,"aw",@nobits
	.globl	__hip_cuid_a6e53ed36b727b29
__hip_cuid_a6e53ed36b727b29:
	.byte	0                               ; 0x0
	.size	__hip_cuid_a6e53ed36b727b29, 1

	.ident	"AMD clang version 19.0.0git (https://github.com/RadeonOpenCompute/llvm-project roc-6.4.0 25133 c7fe45cf4b819c5991fe208aaa96edf142730f1d)"
	.section	".note.GNU-stack","",@progbits
	.addrsig
	.addrsig_sym __hip_cuid_a6e53ed36b727b29
	.amdgpu_metadata
---
amdhsa.kernels:
  - .args:
      - .actual_access:  read_only
        .address_space:  global
        .offset:         0
        .size:           8
        .value_kind:     global_buffer
      - .actual_access:  read_only
        .address_space:  global
        .offset:         8
        .size:           8
        .value_kind:     global_buffer
      - .actual_access:  read_only
        .address_space:  global
        .offset:         16
        .size:           8
        .value_kind:     global_buffer
      - .actual_access:  read_only
        .address_space:  global
        .offset:         24
        .size:           8
        .value_kind:     global_buffer
      - .actual_access:  read_only
        .address_space:  global
        .offset:         32
        .size:           8
        .value_kind:     global_buffer
      - .offset:         40
        .size:           8
        .value_kind:     by_value
      - .address_space:  global
        .offset:         48
        .size:           8
        .value_kind:     global_buffer
      - .address_space:  global
        .offset:         56
        .size:           8
        .value_kind:     global_buffer
      - .address_space:  global
        .offset:         64
        .size:           8
        .value_kind:     global_buffer
      - .address_space:  global
        .offset:         72
        .size:           8
        .value_kind:     global_buffer
      - .offset:         80
        .size:           4
        .value_kind:     by_value
      - .address_space:  global
        .offset:         88
        .size:           8
        .value_kind:     global_buffer
      - .address_space:  global
        .offset:         96
        .size:           8
        .value_kind:     global_buffer
    .group_segment_fixed_size: 25872
    .kernarg_segment_align: 8
    .kernarg_segment_size: 104
    .language:       OpenCL C
    .language_version:
      - 2
      - 0
    .max_flat_workgroup_size: 231
    .name:           bluestein_single_back_len1617_dim1_dp_op_CI_CI
    .private_segment_fixed_size: 240
    .sgpr_count:     40
    .sgpr_spill_count: 0
    .symbol:         bluestein_single_back_len1617_dim1_dp_op_CI_CI.kd
    .uniform_work_group_size: 1
    .uses_dynamic_stack: false
    .vgpr_count:     256
    .vgpr_spill_count: 59
    .wavefront_size: 32
    .workgroup_processor_mode: 1
amdhsa.target:   amdgcn-amd-amdhsa--gfx1201
amdhsa.version:
  - 1
  - 2
...

	.end_amdgpu_metadata
